;; amdgpu-corpus repo=ROCm/rocFFT kind=compiled arch=gfx1030 opt=O3
	.text
	.amdgcn_target "amdgcn-amd-amdhsa--gfx1030"
	.amdhsa_code_object_version 6
	.protected	fft_rtc_fwd_len924_factors_2_2_3_7_11_wgs_44_tpt_44_halfLds_half_op_CI_CI_sbrr_dirReg ; -- Begin function fft_rtc_fwd_len924_factors_2_2_3_7_11_wgs_44_tpt_44_halfLds_half_op_CI_CI_sbrr_dirReg
	.globl	fft_rtc_fwd_len924_factors_2_2_3_7_11_wgs_44_tpt_44_halfLds_half_op_CI_CI_sbrr_dirReg
	.p2align	8
	.type	fft_rtc_fwd_len924_factors_2_2_3_7_11_wgs_44_tpt_44_halfLds_half_op_CI_CI_sbrr_dirReg,@function
fft_rtc_fwd_len924_factors_2_2_3_7_11_wgs_44_tpt_44_halfLds_half_op_CI_CI_sbrr_dirReg: ; @fft_rtc_fwd_len924_factors_2_2_3_7_11_wgs_44_tpt_44_halfLds_half_op_CI_CI_sbrr_dirReg
; %bb.0:
	s_clause 0x2
	s_load_dwordx4 s[16:19], s[4:5], 0x18
	s_load_dwordx4 s[8:11], s[4:5], 0x0
	;; [unrolled: 1-line block ×3, first 2 shown]
	v_mul_u32_u24_e32 v1, 0x5d2, v0
	v_mov_b32_e32 v3, 0
	s_waitcnt lgkmcnt(0)
	s_load_dwordx2 s[20:21], s[16:17], 0x0
	s_load_dwordx2 s[2:3], s[18:19], 0x0
	v_cmp_lt_u64_e64 s0, s[10:11], 2
	v_add_nc_u32_sdwa v5, s6, v1 dst_sel:DWORD dst_unused:UNUSED_PAD src0_sel:DWORD src1_sel:WORD_1
	v_mov_b32_e32 v1, 0
	v_mov_b32_e32 v6, v3
	;; [unrolled: 1-line block ×3, first 2 shown]
	s_and_b32 vcc_lo, exec_lo, s0
	s_cbranch_vccnz .LBB0_8
; %bb.1:
	s_load_dwordx2 s[0:1], s[4:5], 0x10
	v_mov_b32_e32 v1, 0
	v_mov_b32_e32 v2, 0
	s_add_u32 s6, s18, 8
	s_addc_u32 s7, s19, 0
	s_add_u32 s22, s16, 8
	s_addc_u32 s23, s17, 0
	v_mov_b32_e32 v9, v2
	v_mov_b32_e32 v8, v1
	s_mov_b64 s[26:27], 1
	s_waitcnt lgkmcnt(0)
	s_add_u32 s24, s0, 8
	s_addc_u32 s25, s1, 0
.LBB0_2:                                ; =>This Inner Loop Header: Depth=1
	s_load_dwordx2 s[28:29], s[24:25], 0x0
                                        ; implicit-def: $vgpr10_vgpr11
	s_mov_b32 s0, exec_lo
	s_waitcnt lgkmcnt(0)
	v_or_b32_e32 v4, s29, v6
	v_cmpx_ne_u64_e32 0, v[3:4]
	s_xor_b32 s1, exec_lo, s0
	s_cbranch_execz .LBB0_4
; %bb.3:                                ;   in Loop: Header=BB0_2 Depth=1
	v_cvt_f32_u32_e32 v4, s28
	v_cvt_f32_u32_e32 v7, s29
	s_sub_u32 s0, 0, s28
	s_subb_u32 s30, 0, s29
	v_fmac_f32_e32 v4, 0x4f800000, v7
	v_rcp_f32_e32 v4, v4
	v_mul_f32_e32 v4, 0x5f7ffffc, v4
	v_mul_f32_e32 v7, 0x2f800000, v4
	v_trunc_f32_e32 v7, v7
	v_fmac_f32_e32 v4, 0xcf800000, v7
	v_cvt_u32_f32_e32 v7, v7
	v_cvt_u32_f32_e32 v4, v4
	v_mul_lo_u32 v10, s0, v7
	v_mul_hi_u32 v11, s0, v4
	v_mul_lo_u32 v12, s30, v4
	v_add_nc_u32_e32 v10, v11, v10
	v_mul_lo_u32 v11, s0, v4
	v_add_nc_u32_e32 v10, v10, v12
	v_mul_hi_u32 v12, v4, v11
	v_mul_lo_u32 v13, v4, v10
	v_mul_hi_u32 v14, v4, v10
	v_mul_hi_u32 v15, v7, v11
	v_mul_lo_u32 v11, v7, v11
	v_mul_hi_u32 v16, v7, v10
	v_mul_lo_u32 v10, v7, v10
	v_add_co_u32 v12, vcc_lo, v12, v13
	v_add_co_ci_u32_e32 v13, vcc_lo, 0, v14, vcc_lo
	v_add_co_u32 v11, vcc_lo, v12, v11
	v_add_co_ci_u32_e32 v11, vcc_lo, v13, v15, vcc_lo
	v_add_co_ci_u32_e32 v12, vcc_lo, 0, v16, vcc_lo
	v_add_co_u32 v10, vcc_lo, v11, v10
	v_add_co_ci_u32_e32 v11, vcc_lo, 0, v12, vcc_lo
	v_add_co_u32 v4, vcc_lo, v4, v10
	v_add_co_ci_u32_e32 v7, vcc_lo, v7, v11, vcc_lo
	v_mul_hi_u32 v10, s0, v4
	v_mul_lo_u32 v12, s30, v4
	v_mul_lo_u32 v11, s0, v7
	v_add_nc_u32_e32 v10, v10, v11
	v_mul_lo_u32 v11, s0, v4
	v_add_nc_u32_e32 v10, v10, v12
	v_mul_hi_u32 v12, v4, v11
	v_mul_lo_u32 v13, v4, v10
	v_mul_hi_u32 v14, v4, v10
	v_mul_hi_u32 v15, v7, v11
	v_mul_lo_u32 v11, v7, v11
	v_mul_hi_u32 v16, v7, v10
	v_mul_lo_u32 v10, v7, v10
	v_add_co_u32 v12, vcc_lo, v12, v13
	v_add_co_ci_u32_e32 v13, vcc_lo, 0, v14, vcc_lo
	v_add_co_u32 v11, vcc_lo, v12, v11
	v_add_co_ci_u32_e32 v11, vcc_lo, v13, v15, vcc_lo
	v_add_co_ci_u32_e32 v12, vcc_lo, 0, v16, vcc_lo
	v_add_co_u32 v10, vcc_lo, v11, v10
	v_add_co_ci_u32_e32 v11, vcc_lo, 0, v12, vcc_lo
	v_add_co_u32 v4, vcc_lo, v4, v10
	v_add_co_ci_u32_e32 v7, vcc_lo, v7, v11, vcc_lo
	v_mul_hi_u32 v16, v5, v4
	v_mad_u64_u32 v[12:13], null, v6, v4, 0
	v_mad_u64_u32 v[10:11], null, v5, v7, 0
	v_mad_u64_u32 v[14:15], null, v6, v7, 0
	v_add_co_u32 v4, vcc_lo, v16, v10
	v_add_co_ci_u32_e32 v7, vcc_lo, 0, v11, vcc_lo
	v_add_co_u32 v4, vcc_lo, v4, v12
	v_add_co_ci_u32_e32 v4, vcc_lo, v7, v13, vcc_lo
	v_add_co_ci_u32_e32 v7, vcc_lo, 0, v15, vcc_lo
	v_add_co_u32 v4, vcc_lo, v4, v14
	v_add_co_ci_u32_e32 v7, vcc_lo, 0, v7, vcc_lo
	v_mul_lo_u32 v12, s29, v4
	v_mad_u64_u32 v[10:11], null, s28, v4, 0
	v_mul_lo_u32 v13, s28, v7
	v_sub_co_u32 v10, vcc_lo, v5, v10
	v_add3_u32 v11, v11, v13, v12
	v_sub_nc_u32_e32 v12, v6, v11
	v_subrev_co_ci_u32_e64 v12, s0, s29, v12, vcc_lo
	v_add_co_u32 v13, s0, v4, 2
	v_add_co_ci_u32_e64 v14, s0, 0, v7, s0
	v_sub_co_u32 v15, s0, v10, s28
	v_sub_co_ci_u32_e32 v11, vcc_lo, v6, v11, vcc_lo
	v_subrev_co_ci_u32_e64 v12, s0, 0, v12, s0
	v_cmp_le_u32_e32 vcc_lo, s28, v15
	v_cmp_eq_u32_e64 s0, s29, v11
	v_cndmask_b32_e64 v15, 0, -1, vcc_lo
	v_cmp_le_u32_e32 vcc_lo, s29, v12
	v_cndmask_b32_e64 v16, 0, -1, vcc_lo
	v_cmp_le_u32_e32 vcc_lo, s28, v10
	;; [unrolled: 2-line block ×3, first 2 shown]
	v_cndmask_b32_e64 v17, 0, -1, vcc_lo
	v_cmp_eq_u32_e32 vcc_lo, s29, v12
	v_cndmask_b32_e64 v10, v17, v10, s0
	v_cndmask_b32_e32 v12, v16, v15, vcc_lo
	v_add_co_u32 v15, vcc_lo, v4, 1
	v_add_co_ci_u32_e32 v16, vcc_lo, 0, v7, vcc_lo
	v_cmp_ne_u32_e32 vcc_lo, 0, v12
	v_cndmask_b32_e32 v11, v16, v14, vcc_lo
	v_cndmask_b32_e32 v12, v15, v13, vcc_lo
	v_cmp_ne_u32_e32 vcc_lo, 0, v10
	v_cndmask_b32_e32 v11, v7, v11, vcc_lo
	v_cndmask_b32_e32 v10, v4, v12, vcc_lo
.LBB0_4:                                ;   in Loop: Header=BB0_2 Depth=1
	s_andn2_saveexec_b32 s0, s1
	s_cbranch_execz .LBB0_6
; %bb.5:                                ;   in Loop: Header=BB0_2 Depth=1
	v_cvt_f32_u32_e32 v4, s28
	s_sub_i32 s1, 0, s28
	v_rcp_iflag_f32_e32 v4, v4
	v_mul_f32_e32 v4, 0x4f7ffffe, v4
	v_cvt_u32_f32_e32 v4, v4
	v_mul_lo_u32 v7, s1, v4
	v_mul_hi_u32 v7, v4, v7
	v_add_nc_u32_e32 v4, v4, v7
	v_mul_hi_u32 v4, v5, v4
	v_mul_lo_u32 v7, v4, s28
	v_add_nc_u32_e32 v10, 1, v4
	v_sub_nc_u32_e32 v7, v5, v7
	v_subrev_nc_u32_e32 v11, s28, v7
	v_cmp_le_u32_e32 vcc_lo, s28, v7
	v_cndmask_b32_e32 v7, v7, v11, vcc_lo
	v_cndmask_b32_e32 v4, v4, v10, vcc_lo
	v_mov_b32_e32 v11, v3
	v_cmp_le_u32_e32 vcc_lo, s28, v7
	v_add_nc_u32_e32 v10, 1, v4
	v_cndmask_b32_e32 v10, v4, v10, vcc_lo
.LBB0_6:                                ;   in Loop: Header=BB0_2 Depth=1
	s_or_b32 exec_lo, exec_lo, s0
	v_mul_lo_u32 v4, v11, s28
	v_mul_lo_u32 v7, v10, s29
	s_load_dwordx2 s[0:1], s[22:23], 0x0
	v_mad_u64_u32 v[12:13], null, v10, s28, 0
	s_load_dwordx2 s[28:29], s[6:7], 0x0
	s_add_u32 s26, s26, 1
	s_addc_u32 s27, s27, 0
	s_add_u32 s6, s6, 8
	s_addc_u32 s7, s7, 0
	s_add_u32 s22, s22, 8
	v_add3_u32 v4, v13, v7, v4
	v_sub_co_u32 v5, vcc_lo, v5, v12
	s_addc_u32 s23, s23, 0
	s_add_u32 s24, s24, 8
	v_sub_co_ci_u32_e32 v4, vcc_lo, v6, v4, vcc_lo
	s_addc_u32 s25, s25, 0
	s_waitcnt lgkmcnt(0)
	v_mul_lo_u32 v6, s0, v4
	v_mul_lo_u32 v7, s1, v5
	v_mad_u64_u32 v[1:2], null, s0, v5, v[1:2]
	v_mul_lo_u32 v4, s28, v4
	v_mul_lo_u32 v12, s29, v5
	v_mad_u64_u32 v[8:9], null, s28, v5, v[8:9]
	v_cmp_ge_u64_e64 s0, s[26:27], s[10:11]
	v_add3_u32 v2, v7, v2, v6
	v_add3_u32 v9, v12, v9, v4
	s_and_b32 vcc_lo, exec_lo, s0
	s_cbranch_vccnz .LBB0_9
; %bb.7:                                ;   in Loop: Header=BB0_2 Depth=1
	v_mov_b32_e32 v5, v10
	v_mov_b32_e32 v6, v11
	s_branch .LBB0_2
.LBB0_8:
	v_mov_b32_e32 v9, v2
	v_mov_b32_e32 v11, v6
	;; [unrolled: 1-line block ×4, first 2 shown]
.LBB0_9:
	s_load_dwordx2 s[0:1], s[4:5], 0x28
	v_mul_hi_u32 v51, 0x5d1745e, v0
	s_lshl_b64 s[6:7], s[10:11], 3
                                        ; implicit-def: $sgpr10
                                        ; implicit-def: $vgpr14
                                        ; implicit-def: $vgpr15
                                        ; implicit-def: $vgpr3
                                        ; implicit-def: $vgpr5
                                        ; implicit-def: $vgpr6
                                        ; implicit-def: $vgpr7
                                        ; implicit-def: $vgpr12
                                        ; implicit-def: $vgpr4
                                        ; implicit-def: $vgpr13
                                        ; implicit-def: $vgpr16
	s_add_u32 s4, s18, s6
	s_addc_u32 s5, s19, s7
	s_waitcnt lgkmcnt(0)
	v_cmp_gt_u64_e32 vcc_lo, s[0:1], v[10:11]
	v_cmp_le_u64_e64 s0, s[0:1], v[10:11]
	s_and_saveexec_b32 s1, s0
	s_xor_b32 s0, exec_lo, s1
	s_cbranch_execz .LBB0_11
; %bb.10:
	v_mul_u32_u24_e32 v1, 44, v51
	s_mov_b32 s10, 0
                                        ; implicit-def: $vgpr51
	v_sub_nc_u32_e32 v14, v0, v1
                                        ; implicit-def: $vgpr0
                                        ; implicit-def: $vgpr1_vgpr2
	v_add_nc_u32_e32 v15, 44, v14
	v_add_nc_u32_e32 v3, 0x58, v14
	;; [unrolled: 1-line block ×9, first 2 shown]
.LBB0_11:
	s_or_saveexec_b32 s1, s0
	s_load_dwordx2 s[4:5], s[4:5], 0x0
	v_mov_b32_e32 v17, s10
	v_mov_b32_e32 v27, s10
                                        ; implicit-def: $vgpr31
                                        ; implicit-def: $vgpr18
                                        ; implicit-def: $vgpr37
                                        ; implicit-def: $vgpr21
                                        ; implicit-def: $vgpr28
                                        ; implicit-def: $vgpr19
                                        ; implicit-def: $vgpr38
                                        ; implicit-def: $vgpr23
                                        ; implicit-def: $vgpr33
                                        ; implicit-def: $vgpr20
                                        ; implicit-def: $vgpr40
                                        ; implicit-def: $vgpr24
                                        ; implicit-def: $vgpr39
                                        ; implicit-def: $vgpr22
                                        ; implicit-def: $vgpr45
                                        ; implicit-def: $vgpr25
                                        ; implicit-def: $vgpr41
                                        ; implicit-def: $vgpr30
                                        ; implicit-def: $vgpr54
                                        ; implicit-def: $vgpr35
                                        ; implicit-def: $vgpr52
                                        ; implicit-def: $vgpr26
                                        ; implicit-def: $vgpr57
                                        ; implicit-def: $vgpr36
                                        ; implicit-def: $vgpr46
                                        ; implicit-def: $vgpr32
                                        ; implicit-def: $vgpr59
                                        ; implicit-def: $vgpr43
                                        ; implicit-def: $vgpr55
                                        ; implicit-def: $vgpr34
                                        ; implicit-def: $vgpr61
                                        ; implicit-def: $vgpr44
                                        ; implicit-def: $vgpr60
                                        ; implicit-def: $vgpr42
                                        ; implicit-def: $vgpr68
                                        ; implicit-def: $vgpr48
                                        ; implicit-def: $vgpr63
                                        ; implicit-def: $vgpr47
                                        ; implicit-def: $vgpr70
                                        ; implicit-def: $vgpr49
                                        ; implicit-def: $vgpr29
                                        ; implicit-def: $vgpr50
	s_xor_b32 exec_lo, exec_lo, s1
	s_cbranch_execz .LBB0_15
; %bb.12:
	s_add_u32 s6, s16, s6
	s_addc_u32 s7, s17, s7
	v_mul_u32_u24_e32 v3, 44, v51
	s_load_dwordx2 s[6:7], s[6:7], 0x0
	v_sub_nc_u32_e32 v14, v0, v3
	v_lshlrev_b64 v[0:1], 2, v[1:2]
	v_mad_u64_u32 v[4:5], null, s20, v14, 0
	v_add_nc_u32_e32 v21, 0x1ce, v14
	v_add_nc_u32_e32 v15, 44, v14
	v_add_nc_u32_e32 v3, 0x58, v14
	v_add_nc_u32_e32 v26, 0x1fa, v14
	v_mad_u64_u32 v[6:7], null, s20, v21, 0
	v_mov_b32_e32 v2, v5
	v_mad_u64_u32 v[12:13], null, s20, v15, 0
	s_waitcnt lgkmcnt(0)
	v_mul_lo_u32 v5, s7, v10
	v_mul_lo_u32 v22, s6, v11
	v_mad_u64_u32 v[16:17], null, s6, v10, 0
	v_mad_u64_u32 v[18:19], null, s21, v14, v[2:3]
	v_mov_b32_e32 v2, v7
	v_mad_u64_u32 v[19:20], null, s20, v26, 0
	v_mov_b32_e32 v7, v13
	v_add3_u32 v17, v17, v22, v5
	v_mad_u64_u32 v[21:22], null, s21, v21, v[2:3]
	v_mov_b32_e32 v5, v18
	v_mad_u64_u32 v[24:25], null, s21, v15, v[7:8]
	v_lshlrev_b64 v[16:17], 2, v[16:17]
	v_mad_u64_u32 v[22:23], null, s20, v3, 0
	v_lshlrev_b64 v[4:5], 2, v[4:5]
	v_mov_b32_e32 v7, v21
	v_mov_b32_e32 v2, v20
	v_add_co_u32 v16, s0, s12, v16
	v_add_co_ci_u32_e64 v17, s0, s13, v17, s0
	v_lshlrev_b64 v[6:7], 2, v[6:7]
	v_add_co_u32 v0, s0, v16, v0
	v_add_co_ci_u32_e64 v1, s0, v17, v1, s0
	v_mov_b32_e32 v13, v24
	v_add_co_u32 v16, s0, v0, v4
	v_add_co_ci_u32_e64 v17, s0, v1, v5, s0
	v_mad_u64_u32 v[4:5], null, s21, v26, v[2:3]
	v_add_nc_u32_e32 v21, 0x226, v14
	v_mov_b32_e32 v2, v23
	v_add_co_u32 v24, s0, v0, v6
	v_lshlrev_b64 v[5:6], 2, v[12:13]
	v_mad_u64_u32 v[12:13], null, s20, v21, 0
	v_mov_b32_e32 v20, v4
	v_mad_u64_u32 v[26:27], null, s21, v3, v[2:3]
	v_add_co_ci_u32_e64 v25, s0, v1, v7, s0
	v_add_co_u32 v27, s0, v0, v5
	v_add_nc_u32_e32 v5, 0x84, v14
	v_add_co_ci_u32_e64 v28, s0, v1, v6, s0
	v_lshlrev_b64 v[6:7], 2, v[19:20]
	v_mov_b32_e32 v2, v13
	v_mov_b32_e32 v23, v26
	v_mad_u64_u32 v[18:19], null, s20, v5, 0
	v_add_nc_u32_e32 v4, 0x252, v14
	v_add_co_u32 v29, s0, v0, v6
	v_mad_u64_u32 v[20:21], null, s21, v21, v[2:3]
	v_add_co_ci_u32_e64 v30, s0, v1, v7, s0
	v_lshlrev_b64 v[6:7], 2, v[22:23]
	v_mad_u64_u32 v[21:22], null, s20, v4, 0
	v_mov_b32_e32 v2, v19
	v_mov_b32_e32 v13, v20
	s_mov_b32 s6, exec_lo
	v_add_co_u32 v31, s0, v0, v6
	v_mad_u64_u32 v[19:20], null, s21, v5, v[2:3]
	v_mov_b32_e32 v2, v22
	v_add_nc_u32_e32 v6, 0xb0, v14
	v_add_co_ci_u32_e64 v32, s0, v1, v7, s0
	v_add_nc_u32_e32 v7, 0xdc, v14
	v_mad_u64_u32 v[22:23], null, s21, v4, v[2:3]
	v_mad_u64_u32 v[33:34], null, s20, v6, 0
	v_add_nc_u32_e32 v4, 0x27e, v14
	v_lshlrev_b64 v[12:13], 2, v[12:13]
	v_lshlrev_b64 v[18:19], 2, v[18:19]
	;; [unrolled: 1-line block ×3, first 2 shown]
	v_mad_u64_u32 v[35:36], null, s20, v4, 0
	v_mov_b32_e32 v2, v34
	v_add_co_u32 v12, s0, v0, v12
	v_add_co_ci_u32_e64 v13, s0, v1, v13, s0
	v_mad_u64_u32 v[22:23], null, s21, v6, v[2:3]
	v_mov_b32_e32 v2, v36
	v_add_co_u32 v37, s0, v0, v18
	v_add_co_ci_u32_e64 v38, s0, v1, v19, s0
	v_mad_u64_u32 v[41:42], null, s21, v4, v[2:3]
	v_mad_u64_u32 v[42:43], null, s20, v7, 0
	v_add_nc_u32_e32 v4, 0x2aa, v14
	v_mov_b32_e32 v34, v22
	v_add_co_u32 v39, s0, v0, v20
	v_add_co_ci_u32_e64 v40, s0, v1, v21, s0
	v_mov_b32_e32 v2, v43
	s_clause 0x7
	global_load_dword v18, v[16:17], off
	global_load_dword v21, v[24:25], off
	;; [unrolled: 1-line block ×8, first 2 shown]
	v_mad_u64_u32 v[16:17], null, s20, v4, 0
	v_lshlrev_b64 v[12:13], 2, v[33:34]
	v_mov_b32_e32 v36, v41
	v_mad_u64_u32 v[26:27], null, s21, v7, v[2:3]
	v_add_co_u32 v27, s0, v0, v12
	v_add_nc_u32_e32 v12, 0x108, v14
	v_lshlrev_b64 v[29:30], 2, v[35:36]
	v_mov_b32_e32 v2, v17
	v_mov_b32_e32 v43, v26
	v_add_co_ci_u32_e64 v28, s0, v1, v13, s0
	v_mad_u64_u32 v[31:32], null, s20, v12, 0
	v_add_nc_u32_e32 v13, 0x2d6, v14
	v_mad_u64_u32 v[33:34], null, s21, v4, v[2:3]
	v_add_co_u32 v34, s0, v0, v29
	v_add_co_ci_u32_e64 v35, s0, v1, v30, s0
	v_lshlrev_b64 v[29:30], 2, v[42:43]
	v_mad_u64_u32 v[36:37], null, s20, v13, 0
	v_add_nc_u32_e32 v4, 0x134, v14
	v_mov_b32_e32 v2, v32
	v_mov_b32_e32 v17, v33
	v_add_co_u32 v38, s0, v0, v29
	v_add_co_ci_u32_e64 v39, s0, v1, v30, s0
	v_mad_u64_u32 v[29:30], null, s20, v4, 0
	v_mad_u64_u32 v[32:33], null, s21, v12, v[2:3]
	v_mov_b32_e32 v2, v37
	v_lshlrev_b64 v[16:17], 2, v[16:17]
	v_add_nc_u32_e32 v26, 0x302, v14
	v_mad_u64_u32 v[40:41], null, s21, v13, v[2:3]
	v_mov_b32_e32 v2, v30
	v_add_co_u32 v41, s0, v0, v16
	v_add_co_ci_u32_e64 v42, s0, v1, v17, s0
	v_lshlrev_b64 v[16:17], 2, v[31:32]
	v_mad_u64_u32 v[30:31], null, s21, v4, v[2:3]
	v_mov_b32_e32 v37, v40
	v_mad_u64_u32 v[31:32], null, s20, v26, 0
	v_add_nc_u32_e32 v13, 0x160, v14
	v_add_co_u32 v43, s0, v0, v16
	v_add_co_ci_u32_e64 v44, s0, v1, v17, s0
	v_lshlrev_b64 v[16:17], 2, v[36:37]
	v_add_nc_u32_e32 v40, 0x32e, v14
	v_mad_u64_u32 v[36:37], null, s20, v13, 0
	v_mov_b32_e32 v2, v32
	v_lshlrev_b64 v[29:30], 2, v[29:30]
	v_mad_u64_u32 v[45:46], null, s20, v40, 0
	v_add_co_u32 v47, s0, v0, v16
	v_mad_u64_u32 v[32:33], null, s21, v26, v[2:3]
	v_mov_b32_e32 v2, v37
	v_add_nc_u32_e32 v16, 0x18c, v14
	v_add_co_ci_u32_e64 v48, s0, v1, v17, s0
	v_add_nc_u32_e32 v17, 0x35a, v14
	v_mad_u64_u32 v[49:50], null, s21, v13, v[2:3]
	v_mov_b32_e32 v2, v46
	v_mad_u64_u32 v[50:51], null, s20, v16, 0
	v_add_co_u32 v55, s0, v0, v29
	v_mad_u64_u32 v[52:53], null, s21, v40, v[2:3]
	v_mad_u64_u32 v[53:54], null, s20, v17, 0
	v_mov_b32_e32 v2, v51
	v_add_co_ci_u32_e64 v56, s0, v1, v30, s0
	v_lshlrev_b64 v[29:30], 2, v[31:32]
	v_mov_b32_e32 v37, v49
	v_mad_u64_u32 v[31:32], null, s21, v16, v[2:3]
	v_mov_b32_e32 v2, v54
	v_mov_b32_e32 v46, v52
	v_add_co_u32 v57, s0, v0, v29
	v_add_co_ci_u32_e64 v58, s0, v1, v30, s0
	v_mad_u64_u32 v[32:33], null, s21, v17, v[2:3]
	v_lshlrev_b64 v[29:30], 2, v[36:37]
	v_mov_b32_e32 v51, v31
	v_lshlrev_b64 v[36:37], 2, v[45:46]
	v_mov_b32_e32 v17, 0
	v_add_co_u32 v45, s0, v0, v29
	v_mov_b32_e32 v54, v32
	v_add_co_ci_u32_e64 v46, s0, v1, v30, s0
	v_lshlrev_b64 v[29:30], 2, v[50:51]
	v_add_co_u32 v49, s0, v0, v36
	v_lshlrev_b64 v[31:32], 2, v[53:54]
	v_add_co_ci_u32_e64 v50, s0, v1, v37, s0
	v_add_co_u32 v51, s0, v0, v29
	v_add_co_ci_u32_e64 v52, s0, v1, v30, s0
	v_add_co_u32 v53, s0, v0, v31
	v_add_co_ci_u32_e64 v54, s0, v1, v32, s0
	s_clause 0xb
	global_load_dword v30, v[27:28], off
	global_load_dword v35, v[34:35], off
	;; [unrolled: 1-line block ×12, first 2 shown]
	v_mov_b32_e32 v27, 0
                                        ; implicit-def: $vgpr50
                                        ; implicit-def: $vgpr29
	v_cmpx_gt_u32_e32 22, v14
	s_cbranch_execz .LBB0_14
; %bb.13:
	v_add_nc_u32_e32 v29, 0x1b8, v14
	v_add_nc_u32_e32 v31, 0x386, v14
	v_mad_u64_u32 v[27:28], null, s20, v29, 0
	v_mad_u64_u32 v[37:38], null, s20, v31, 0
	v_mov_b32_e32 v2, v28
	v_mov_b32_e32 v17, v38
	v_mad_u64_u32 v[28:29], null, s21, v29, v[2:3]
	s_waitcnt vmcnt(19)
	v_mad_u64_u32 v[38:39], null, s21, v31, v[17:18]
	v_lshlrev_b64 v[27:28], 2, v[27:28]
	v_lshlrev_b64 v[37:38], 2, v[37:38]
	v_add_co_u32 v27, s0, v0, v27
	v_add_co_ci_u32_e64 v28, s0, v1, v28, s0
	v_add_co_u32 v0, s0, v0, v37
	v_add_co_ci_u32_e64 v1, s0, v1, v38, s0
	s_clause 0x1
	global_load_dword v27, v[27:28], off
	global_load_dword v50, v[0:1], off
	s_waitcnt vmcnt(1)
	v_lshrrev_b32_e32 v17, 16, v27
	s_waitcnt vmcnt(0)
	v_lshrrev_b32_e32 v29, 16, v50
.LBB0_14:
	s_or_b32 exec_lo, exec_lo, s6
	s_waitcnt vmcnt(19)
	v_lshrrev_b32_e32 v31, 16, v18
	s_waitcnt vmcnt(18)
	v_lshrrev_b32_e32 v37, 16, v21
	;; [unrolled: 2-line block ×20, first 2 shown]
.LBB0_15:
	s_or_b32 exec_lo, exec_lo, s1
	v_sub_f16_e32 v1, v18, v21
	v_sub_f16_e32 v2, v19, v23
	;; [unrolled: 1-line block ×5, first 2 shown]
	v_fma_f16 v18, v18, 2.0, -v1
	v_fma_f16 v19, v19, 2.0, -v2
	;; [unrolled: 1-line block ×4, first 2 shown]
	v_sub_f16_e32 v30, v26, v36
	v_fma_f16 v22, v22, 2.0, -v23
	v_sub_f16_e32 v51, v32, v43
	v_sub_f16_e32 v53, v34, v44
	v_lshl_add_u32 v74, v14, 2, 0
	v_pack_b32_f16 v35, v18, v1
	v_pack_b32_f16 v2, v19, v2
	v_lshl_add_u32 v18, v3, 2, 0
	v_pack_b32_f16 v19, v20, v21
	v_lshl_add_u32 v76, v15, 2, 0
	v_sub_f16_e32 v48, v42, v48
	v_fma_f16 v26, v26, 2.0, -v30
	v_sub_f16_e32 v49, v47, v49
	v_fma_f16 v32, v32, 2.0, -v51
	v_fma_f16 v34, v34, 2.0, -v53
	v_sub_f16_e32 v0, v27, v50
	ds_write_b32 v74, v35
	ds_write_b32 v76, v2
	;; [unrolled: 1-line block ×3, first 2 shown]
	v_lshl_add_u32 v19, v5, 2, 0
	v_pack_b32_f16 v2, v22, v23
	v_lshl_add_u32 v71, v6, 2, 0
	v_pack_b32_f16 v20, v25, v24
	v_add_nc_u32_e32 v62, 0x1b8, v14
	v_fma_f16 v56, v42, 2.0, -v48
	v_lshl_add_u32 v72, v7, 2, 0
	v_pack_b32_f16 v21, v26, v30
	v_fma_f16 v64, v47, 2.0, -v49
	v_fma_f16 v1, v27, 2.0, -v0
	v_lshlrev_b32_e32 v35, 1, v3
	v_lshlrev_b32_e32 v36, 1, v5
	ds_write_b32 v19, v2
	v_lshlrev_b32_e32 v42, 1, v6
	ds_write_b32 v71, v20
	v_lshlrev_b32_e32 v43, 1, v7
	v_lshlrev_b32_e32 v44, 1, v12
	v_lshl_add_u32 v73, v12, 2, 0
	v_pack_b32_f16 v2, v32, v51
	v_lshlrev_b32_e32 v47, 1, v4
	v_lshl_add_u32 v20, v4, 2, 0
	v_pack_b32_f16 v4, v34, v53
	v_lshlrev_b32_e32 v53, 1, v13
	v_lshl_add_u32 v75, v13, 2, 0
	v_lshlrev_b32_e32 v58, 1, v16
	v_lshl_add_u32 v16, v16, 2, 0
	v_cmp_gt_u32_e64 s0, 22, v14
	v_lshl_add_u32 v13, v62, 2, 0
	ds_write_b32 v72, v21
	v_pack_b32_f16 v21, v56, v48
	v_pack_b32_f16 v22, v64, v49
	ds_write_b32 v73, v2
	ds_write_b32 v20, v4
	;; [unrolled: 1-line block ×4, first 2 shown]
	s_and_saveexec_b32 s1, s0
	s_cbranch_execz .LBB0_17
; %bb.16:
	v_perm_b32 v2, v0, v1, 0x5040100
	ds_write_b32 v13, v2
.LBB0_17:
	s_or_b32 exec_lo, exec_lo, s1
	v_lshl_add_u32 v2, v14, 1, 0
	v_sub_nc_u32_e32 v21, v18, v35
	v_sub_nc_u32_e32 v22, v19, v36
	;; [unrolled: 1-line block ×8, first 2 shown]
	s_waitcnt lgkmcnt(0)
	s_barrier
	buffer_gl0_inv
	v_lshl_add_u32 v4, v15, 1, 0
	ds_read_u16 v48, v21
	ds_read_u16 v49, v22
	;; [unrolled: 1-line block ×5, first 2 shown]
	ds_read_u16 v34, v2 offset:924
	ds_read_u16 v32, v2 offset:1012
	;; [unrolled: 1-line block ×9, first 2 shown]
	ds_read_u16 v64, v25
	ds_read_u16 v65, v65
	;; [unrolled: 1-line block ×5, first 2 shown]
	ds_read_u16 v25, v2 offset:1716
	s_and_saveexec_b32 s1, s0
	s_cbranch_execz .LBB0_19
; %bb.18:
	ds_read_u16 v1, v2 offset:880
	ds_read_u16 v0, v2 offset:1804
.LBB0_19:
	s_or_b32 exec_lo, exec_lo, s1
	v_sub_f16_e32 v85, v31, v37
	v_sub_f16_e32 v38, v28, v38
	;; [unrolled: 1-line block ×5, first 2 shown]
	v_fma_f16 v31, v31, 2.0, -v85
	v_sub_f16_e32 v57, v52, v57
	v_sub_f16_e32 v37, v17, v29
	v_fma_f16 v86, v28, 2.0, -v38
	v_sub_f16_e32 v59, v46, v59
	v_fma_f16 v33, v33, 2.0, -v40
	;; [unrolled: 2-line block ×5, first 2 shown]
	v_fma_f16 v28, v17, 2.0, -v37
	v_pack_b32_f16 v17, v31, v85
	v_fma_f16 v29, v46, 2.0, -v59
	v_pack_b32_f16 v31, v86, v38
	;; [unrolled: 2-line block ×5, first 2 shown]
	v_sub_nc_u32_e32 v84, 0, v35
	v_sub_nc_u32_e32 v83, 0, v36
	;; [unrolled: 1-line block ×8, first 2 shown]
	s_waitcnt lgkmcnt(0)
	s_barrier
	buffer_gl0_inv
	ds_write_b32 v74, v17
	ds_write_b32 v76, v31
	;; [unrolled: 1-line block ×5, first 2 shown]
	v_pack_b32_f16 v17, v52, v57
	v_pack_b32_f16 v29, v29, v59
	;; [unrolled: 1-line block ×5, first 2 shown]
	ds_write_b32 v72, v17
	ds_write_b32 v73, v29
	;; [unrolled: 1-line block ×5, first 2 shown]
	s_and_saveexec_b32 s1, s0
	s_cbranch_execz .LBB0_21
; %bb.20:
	v_perm_b32 v17, v37, v28, 0x5040100
	ds_write_b32 v13, v17
.LBB0_21:
	s_or_b32 exec_lo, exec_lo, s1
	v_add_nc_u32_e32 v13, v18, v84
	v_add_nc_u32_e32 v18, v19, v83
	;; [unrolled: 1-line block ×7, first 2 shown]
	s_waitcnt lgkmcnt(0)
	s_barrier
	buffer_gl0_inv
	ds_read_u16 v38, v13
	ds_read_u16 v39, v18
	;; [unrolled: 1-line block ×5, first 2 shown]
	ds_read_u16 v74, v2 offset:924
	ds_read_u16 v70, v2 offset:1012
	;; [unrolled: 1-line block ×7, first 2 shown]
	v_add_nc_u32_e32 v20, v16, v77
	ds_read_u16 v60, v2 offset:1540
	ds_read_u16 v61, v2 offset:1628
	ds_read_u16 v45, v19
	ds_read_u16 v46, v33
	;; [unrolled: 1-line block ×5, first 2 shown]
	ds_read_u16 v68, v2 offset:1716
	v_lshlrev_b32_e32 v16, 1, v14
	v_lshlrev_b32_e32 v76, 1, v15
	s_and_saveexec_b32 s1, s0
	s_cbranch_execz .LBB0_23
; %bb.22:
	ds_read_u16 v28, v2 offset:880
	ds_read_u16 v37, v2 offset:1804
.LBB0_23:
	s_or_b32 exec_lo, exec_lo, s1
	v_and_b32_e32 v52, 1, v14
	v_lshlrev_b32_e32 v62, 1, v62
	v_lshlrev_b32_e32 v75, 2, v52
	v_and_or_b32 v16, 0x7c, v16, v52
	v_and_or_b32 v35, 0x1fc, v35, v52
	;; [unrolled: 1-line block ×4, first 2 shown]
	global_load_dword v75, v75, s[8:9]
	v_and_or_b32 v42, 0x1fc, v42, v52
	v_and_or_b32 v43, 0x3fc, v43, v52
	;; [unrolled: 1-line block ×6, first 2 shown]
	v_lshl_add_u32 v83, v16, 1, 0
	v_lshl_add_u32 v81, v35, 1, 0
	;; [unrolled: 1-line block ×10, first 2 shown]
	s_waitcnt vmcnt(0) lgkmcnt(0)
	s_barrier
	buffer_gl0_inv
	v_mul_f16_sdwa v16, v74, v75 dst_sel:DWORD dst_unused:UNUSED_PAD src0_sel:DWORD src1_sel:WORD_1
	v_mul_f16_sdwa v35, v70, v75 dst_sel:DWORD dst_unused:UNUSED_PAD src0_sel:DWORD src1_sel:WORD_1
	v_mul_f16_sdwa v36, v71, v75 dst_sel:DWORD dst_unused:UNUSED_PAD src0_sel:DWORD src1_sel:WORD_1
	v_mul_f16_sdwa v42, v72, v75 dst_sel:DWORD dst_unused:UNUSED_PAD src0_sel:DWORD src1_sel:WORD_1
	v_mul_f16_sdwa v43, v73, v75 dst_sel:DWORD dst_unused:UNUSED_PAD src0_sel:DWORD src1_sel:WORD_1
	v_mul_f16_sdwa v44, v63, v75 dst_sel:DWORD dst_unused:UNUSED_PAD src0_sel:DWORD src1_sel:WORD_1
	v_mul_f16_sdwa v47, v59, v75 dst_sel:DWORD dst_unused:UNUSED_PAD src0_sel:DWORD src1_sel:WORD_1
	v_mul_f16_sdwa v84, v60, v75 dst_sel:DWORD dst_unused:UNUSED_PAD src0_sel:DWORD src1_sel:WORD_1
	v_mul_f16_sdwa v85, v61, v75 dst_sel:DWORD dst_unused:UNUSED_PAD src0_sel:DWORD src1_sel:WORD_1
	v_mul_f16_sdwa v86, v68, v75 dst_sel:DWORD dst_unused:UNUSED_PAD src0_sel:DWORD src1_sel:WORD_1
	v_mul_f16_sdwa v87, v37, v75 dst_sel:DWORD dst_unused:UNUSED_PAD src0_sel:DWORD src1_sel:WORD_1
	v_fma_f16 v16, v34, v75, -v16
	v_fma_f16 v35, v32, v75, -v35
	;; [unrolled: 1-line block ×11, first 2 shown]
	v_sub_f16_e32 v88, v56, v16
	v_sub_f16_e32 v35, v69, v35
	;; [unrolled: 1-line block ×11, first 2 shown]
	v_fma_f16 v56, v56, 2.0, -v88
	v_fma_f16 v69, v69, 2.0, -v35
	;; [unrolled: 1-line block ×10, first 2 shown]
	ds_write_b16 v83, v88 offset:4
	ds_write_b16 v83, v56
	ds_write_b16 v82, v69
	ds_write_b16 v82, v35 offset:4
	ds_write_b16 v81, v48
	ds_write_b16 v81, v36 offset:4
	ds_write_b16 v80, v49
	ds_write_b16 v80, v42 offset:4
	ds_write_b16 v79, v50
	ds_write_b16 v79, v43 offset:4
	ds_write_b16 v78, v51
	ds_write_b16 v78, v44 offset:4
	ds_write_b16 v77, v64
	ds_write_b16 v77, v47 offset:4
	ds_write_b16 v76, v65
	ds_write_b16 v76, v84 offset:4
	ds_write_b16 v58, v66
	ds_write_b16 v58, v85 offset:4
	ds_write_b16 v53, v67
	ds_write_b16 v53, v86 offset:4
	s_and_saveexec_b32 s1, s0
	s_cbranch_execz .LBB0_25
; %bb.24:
	v_and_or_b32 v35, 0x3fc, v62, v52
	v_fma_f16 v1, v1, 2.0, -v16
	v_lshl_add_u32 v35, v35, 1, 0
	ds_write_b16 v35, v1
	ds_write_b16 v35, v16 offset:4
.LBB0_25:
	s_or_b32 exec_lo, exec_lo, s1
	v_mul_f16_sdwa v1, v34, v75 dst_sel:DWORD dst_unused:UNUSED_PAD src0_sel:DWORD src1_sel:WORD_1
	v_mul_f16_sdwa v32, v32, v75 dst_sel:DWORD dst_unused:UNUSED_PAD src0_sel:DWORD src1_sel:WORD_1
	v_mul_f16_sdwa v30, v30, v75 dst_sel:DWORD dst_unused:UNUSED_PAD src0_sel:DWORD src1_sel:WORD_1
	v_mul_f16_sdwa v27, v27, v75 dst_sel:DWORD dst_unused:UNUSED_PAD src0_sel:DWORD src1_sel:WORD_1
	v_mul_f16_sdwa v26, v26, v75 dst_sel:DWORD dst_unused:UNUSED_PAD src0_sel:DWORD src1_sel:WORD_1
	v_mul_f16_sdwa v21, v21, v75 dst_sel:DWORD dst_unused:UNUSED_PAD src0_sel:DWORD src1_sel:WORD_1
	v_mul_f16_sdwa v24, v24, v75 dst_sel:DWORD dst_unused:UNUSED_PAD src0_sel:DWORD src1_sel:WORD_1
	v_fmac_f16_e32 v1, v74, v75
	v_mul_f16_sdwa v23, v23, v75 dst_sel:DWORD dst_unused:UNUSED_PAD src0_sel:DWORD src1_sel:WORD_1
	v_fmac_f16_e32 v32, v70, v75
	v_fmac_f16_e32 v30, v71, v75
	;; [unrolled: 1-line block ×4, first 2 shown]
	v_mul_f16_sdwa v22, v22, v75 dst_sel:DWORD dst_unused:UNUSED_PAD src0_sel:DWORD src1_sel:WORD_1
	v_mul_f16_sdwa v25, v25, v75 dst_sel:DWORD dst_unused:UNUSED_PAD src0_sel:DWORD src1_sel:WORD_1
	v_fmac_f16_e32 v21, v59, v75
	v_fmac_f16_e32 v24, v60, v75
	;; [unrolled: 1-line block ×3, first 2 shown]
	v_mul_f16_sdwa v0, v0, v75 dst_sel:DWORD dst_unused:UNUSED_PAD src0_sel:DWORD src1_sel:WORD_1
	v_fmac_f16_e32 v22, v61, v75
	v_fmac_f16_e32 v25, v68, v75
	v_sub_f16_e32 v1, v41, v1
	v_sub_f16_e32 v32, v57, v32
	;; [unrolled: 1-line block ×7, first 2 shown]
	v_fmac_f16_e32 v0, v37, v75
	v_fma_f16 v50, v41, 2.0, -v1
	v_fma_f16 v51, v57, 2.0, -v32
	;; [unrolled: 1-line block ×5, first 2 shown]
	v_sub_f16_e32 v60, v17, v23
	v_sub_f16_e32 v64, v54, v22
	;; [unrolled: 1-line block ×3, first 2 shown]
	v_fma_f16 v67, v45, 2.0, -v61
	v_fma_f16 v68, v46, 2.0, -v63
	s_waitcnt lgkmcnt(0)
	s_barrier
	buffer_gl0_inv
	ds_read_u16 v21, v13
	ds_read_u16 v22, v18
	;; [unrolled: 1-line block ×5, first 2 shown]
	ds_read_u16 v44, v2 offset:704
	ds_read_u16 v42, v2 offset:792
	;; [unrolled: 1-line block ×10, first 2 shown]
	ds_read_u16 v47, v33
	ds_read_u16 v25, v19
	ds_read_u16 v48, v2 offset:1232
	ds_read_u16 v38, v2 offset:1144
	ds_read_u16 v27, v4
	ds_read_u16 v39, v2 offset:1760
	v_fma_f16 v66, v17, 2.0, -v60
	v_sub_f16_e32 v17, v28, v0
	v_fma_f16 v54, v54, 2.0, -v64
	v_fma_f16 v55, v55, 2.0, -v65
	s_waitcnt lgkmcnt(0)
	s_barrier
	buffer_gl0_inv
	ds_write_b16 v83, v50
	ds_write_b16 v83, v1 offset:4
	ds_write_b16 v82, v51
	ds_write_b16 v82, v32 offset:4
	;; [unrolled: 2-line block ×10, first 2 shown]
	s_and_saveexec_b32 s1, s0
	s_cbranch_execz .LBB0_27
; %bb.26:
	v_and_or_b32 v0, 0x3fc, v62, v52
	v_fma_f16 v1, v28, 2.0, -v17
	v_lshl_add_u32 v0, v0, 1, 0
	ds_write_b16 v0, v1
	ds_write_b16 v0, v17 offset:4
.LBB0_27:
	s_or_b32 exec_lo, exec_lo, s1
	v_and_b32_e32 v49, 3, v14
	s_waitcnt lgkmcnt(0)
	s_barrier
	buffer_gl0_inv
	v_and_b32_e32 v67, 0xff, v14
	v_lshlrev_b32_e32 v0, 3, v49
	v_lshrrev_b32_e32 v64, 2, v14
	v_lshrrev_b32_e32 v65, 2, v15
	;; [unrolled: 1-line block ×4, first 2 shown]
	global_load_dwordx2 v[0:1], v0, s[8:9] offset:8
	ds_read_u16 v30, v18
	ds_read_u16 v29, v29
	;; [unrolled: 1-line block ×4, first 2 shown]
	ds_read_u16 v50, v2 offset:704
	ds_read_u16 v51, v2 offset:792
	;; [unrolled: 1-line block ×10, first 2 shown]
	ds_read_u16 v60, v33
	ds_read_u16 v31, v19
	ds_read_u16 v61, v2 offset:1232
	ds_read_u16 v62, v2 offset:1144
	ds_read_u16 v33, v13
	ds_read_u16 v34, v4
	ds_read_u16 v63, v2 offset:1760
	v_lshrrev_b32_e32 v6, 2, v6
	v_lshrrev_b32_e32 v7, 2, v7
	;; [unrolled: 1-line block ×3, first 2 shown]
	v_and_b32_e32 v69, 0xff, v15
	v_mul_lo_u16 v67, 0xab, v67
	v_and_b32_e32 v70, 0xff, v3
	v_mul_u32_u24_e32 v64, 12, v64
	v_mul_lo_u32 v65, v65, 12
	v_mul_lo_u32 v66, v66, 12
	;; [unrolled: 1-line block ×6, first 2 shown]
	v_mul_lo_u16 v69, 0xab, v69
	v_lshrrev_b16 v67, 11, v67
	v_mul_lo_u16 v70, 0xab, v70
	v_or_b32_e32 v64, v64, v49
	v_or_b32_e32 v65, v65, v49
	v_lshrrev_b16 v69, 11, v69
	v_mul_lo_u16 v71, v67, 12
	v_lshrrev_b16 v70, 11, v70
	v_or_b32_e32 v66, v66, v49
	v_or_b32_e32 v5, v5, v49
	v_or_b32_e32 v6, v6, v49
	v_or_b32_e32 v7, v7, v49
	v_or_b32_e32 v12, v12, v49
	v_lshl_add_u32 v49, v64, 1, 0
	v_lshl_add_u32 v65, v65, 1, 0
	v_mov_b32_e32 v68, 6
	v_sub_nc_u16 v64, v14, v71
	v_mul_lo_u16 v71, v69, 12
	s_waitcnt vmcnt(0) lgkmcnt(0)
	s_barrier
	buffer_gl0_inv
	v_lshl_add_u32 v66, v66, 1, 0
	v_lshl_add_u32 v5, v5, 1, 0
	v_lshl_add_u32 v6, v6, 1, 0
	v_lshl_add_u32 v7, v7, 1, 0
	v_lshl_add_u32 v12, v12, 1, 0
	v_mul_u32_u24_sdwa v72, v64, v68 dst_sel:DWORD dst_unused:UNUSED_PAD src0_sel:BYTE_0 src1_sel:DWORD
	v_sub_nc_u16 v71, v15, v71
	v_cmp_gt_u32_e64 s0, 40, v14
	v_lshlrev_b32_e32 v72, 2, v72
	v_mul_f16_sdwa v73, v60, v0 dst_sel:DWORD dst_unused:UNUSED_PAD src0_sel:DWORD src1_sel:WORD_1
	v_mul_f16_sdwa v75, v61, v1 dst_sel:DWORD dst_unused:UNUSED_PAD src0_sel:DWORD src1_sel:WORD_1
	;; [unrolled: 1-line block ×27, first 2 shown]
	v_fma_f16 v47, v47, v0, -v73
	v_fma_f16 v48, v48, v1, -v75
	v_fmac_f16_e32 v74, v60, v0
	v_fmac_f16_e32 v76, v61, v1
	v_fma_f16 v44, v44, v0, -v77
	v_fma_f16 v46, v46, v1, -v79
	v_mul_f16_sdwa v100, v39, v1 dst_sel:DWORD dst_unused:UNUSED_PAD src0_sel:DWORD src1_sel:WORD_1
	v_fmac_f16_e32 v78, v50, v0
	v_fmac_f16_e32 v80, v55, v1
	v_fma_f16 v42, v42, v0, -v81
	v_fmac_f16_e32 v82, v51, v0
	v_fma_f16 v45, v45, v1, -v83
	;; [unrolled: 2-line block ×10, first 2 shown]
	v_add_f16_e32 v39, v47, v48
	v_add_f16_e32 v52, v74, v76
	;; [unrolled: 1-line block ×3, first 2 shown]
	v_fmac_f16_e32 v100, v63, v1
	v_add_f16_e32 v1, v26, v47
	v_sub_f16_e32 v50, v74, v76
	v_add_f16_e32 v51, v32, v74
	v_add_f16_e32 v57, v78, v80
	v_add_f16_e32 v59, v42, v45
	v_sub_f16_e32 v60, v82, v84
	v_add_f16_e32 v61, v33, v82
	v_add_f16_e32 v62, v82, v84
	;; [unrolled: 4-line block ×4, first 2 shown]
	v_add_f16_e32 v86, v35, v37
	v_add_f16_e32 v90, v94, v96
	;; [unrolled: 1-line block ×3, first 2 shown]
	v_fmac_f16_e32 v26, -0.5, v39
	v_add_f16_e32 v53, v27, v44
	v_sub_f16_e32 v47, v47, v48
	v_sub_f16_e32 v55, v78, v80
	v_fmac_f16_e32 v32, -0.5, v52
	v_fmac_f16_e32 v27, -0.5, v54
	v_add_f16_e32 v56, v34, v78
	v_sub_f16_e32 v44, v44, v46
	v_add_f16_e32 v58, v21, v42
	v_sub_f16_e32 v42, v42, v45
	;; [unrolled: 2-line block ×7, first 2 shown]
	v_add_f16_e32 v1, v1, v48
	v_fmac_f16_e32 v34, -0.5, v57
	v_fmac_f16_e32 v21, -0.5, v59
	;; [unrolled: 1-line block ×10, first 2 shown]
	v_fmamk_f16 v57, v50, 0x3aee, v26
	v_fmac_f16_e32 v26, 0xbaee, v50
	v_add_f16_e32 v46, v53, v46
	v_fmamk_f16 v50, v47, 0xbaee, v32
	v_fmac_f16_e32 v32, 0x3aee, v47
	v_fmamk_f16 v47, v55, 0x3aee, v27
	v_sub_f16_e32 v38, v38, v0
	v_add_f16_e32 v39, v51, v76
	v_add_f16_e32 v45, v58, v45
	;; [unrolled: 1-line block ×7, first 2 shown]
	v_fmac_f16_e32 v27, 0xbaee, v55
	v_fmamk_f16 v55, v44, 0xbaee, v34
	v_fmac_f16_e32 v34, 0x3aee, v44
	v_fmamk_f16 v44, v60, 0x3aee, v21
	;; [unrolled: 2-line block ×10, first 2 shown]
	v_fmac_f16_e32 v25, 0xbaee, v94
	ds_write_b16 v49, v1
	ds_write_b16 v49, v57 offset:8
	ds_write_b16 v49, v26 offset:16
	ds_write_b16 v65, v46
	ds_write_b16 v65, v47 offset:8
	ds_write_b16 v65, v27 offset:16
	;; [unrolled: 3-line block ×7, first 2 shown]
	v_mul_lo_u16 v1, v70, 12
	v_add_f16_e32 v97, v98, v100
	v_add_f16_e32 v95, v31, v98
	v_mul_u32_u24_sdwa v0, v71, v68 dst_sel:DWORD dst_unused:UNUSED_PAD src0_sel:BYTE_0 src1_sel:DWORD
	v_add_f16_e32 v48, v56, v80
	v_sub_nc_u16 v1, v3, v1
	v_fmac_f16_e32 v31, -0.5, v97
	v_add_f16_e32 v52, v75, v88
	v_add_f16_e32 v53, v82, v92
	;; [unrolled: 1-line block ×3, first 2 shown]
	v_mul_u32_u24_sdwa v3, v1, v68 dst_sel:DWORD dst_unused:UNUSED_PAD src0_sel:BYTE_0 src1_sel:DWORD
	v_add_f16_e32 v56, v95, v100
	v_fmamk_f16 v62, v38, 0xbaee, v31
	v_fmac_f16_e32 v31, 0x3aee, v38
	s_waitcnt lgkmcnt(0)
	s_barrier
	buffer_gl0_inv
	ds_read_u16 v35, v20
	ds_read_u16 v73, v4
	ds_read_u16 v74, v2
	ds_read_u16 v37, v2 offset:352
	ds_read_u16 v75, v2 offset:1144
	ds_read_u16 v76, v19
	ds_read_u16 v77, v18
	;; [unrolled: 1-line block ×3, first 2 shown]
	ds_read_u16 v79, v2 offset:1056
	ds_read_u16 v80, v2 offset:968
	;; [unrolled: 1-line block ×13, first 2 shown]
	s_waitcnt lgkmcnt(0)
	s_barrier
	buffer_gl0_inv
	ds_write_b16 v49, v39
	ds_write_b16 v49, v50 offset:8
	ds_write_b16 v49, v32 offset:16
	ds_write_b16 v65, v48
	ds_write_b16 v65, v55 offset:8
	ds_write_b16 v65, v34 offset:16
	ds_write_b16 v66, v51
	ds_write_b16 v66, v58 offset:8
	ds_write_b16 v66, v33 offset:16
	ds_write_b16 v5, v52
	ds_write_b16 v5, v59 offset:8
	ds_write_b16 v5, v30 offset:16
	ds_write_b16 v6, v53
	ds_write_b16 v6, v60 offset:8
	ds_write_b16 v6, v29 offset:16
	ds_write_b16 v7, v54
	ds_write_b16 v7, v61 offset:8
	ds_write_b16 v7, v28 offset:16
	ds_write_b16 v12, v56
	ds_write_b16 v12, v62 offset:8
	ds_write_b16 v12, v31 offset:16
	s_waitcnt lgkmcnt(0)
	s_barrier
	buffer_gl0_inv
	global_load_dwordx4 v[21:24], v72, s[8:9] offset:40
	v_lshlrev_b32_e32 v0, 2, v0
	global_load_dwordx2 v[42:43], v72, s[8:9] offset:56
	v_lshlrev_b32_e32 v3, 2, v3
	s_clause 0x3
	global_load_dwordx4 v[25:28], v0, s[8:9] offset:40
	global_load_dwordx2 v[44:45], v0, s[8:9] offset:56
	global_load_dwordx4 v[38:41], v3, s[8:9] offset:40
	global_load_dwordx2 v[46:47], v3, s[8:9] offset:56
	v_mov_b32_e32 v0, 0xa8
	v_mov_b32_e32 v3, 1
	v_mul_u32_u24_sdwa v5, v67, v0 dst_sel:DWORD dst_unused:UNUSED_PAD src0_sel:WORD_0 src1_sel:DWORD
	v_mul_u32_u24_sdwa v6, v69, v0 dst_sel:DWORD dst_unused:UNUSED_PAD src0_sel:WORD_0 src1_sel:DWORD
	v_lshlrev_b32_sdwa v7, v3, v64 dst_sel:DWORD dst_unused:UNUSED_PAD src0_sel:DWORD src1_sel:BYTE_0
	v_lshlrev_b32_sdwa v12, v3, v71 dst_sel:DWORD dst_unused:UNUSED_PAD src0_sel:DWORD src1_sel:BYTE_0
	;; [unrolled: 1-line block ×3, first 2 shown]
	v_mul_u32_u24_sdwa v0, v70, v0 dst_sel:DWORD dst_unused:UNUSED_PAD src0_sel:WORD_0 src1_sel:DWORD
	v_add3_u32 v3, 0, v5, v7
	v_add3_u32 v1, 0, v6, v12
	ds_read_u16 v18, v18
	ds_read_u16 v19, v19
	;; [unrolled: 1-line block ×3, first 2 shown]
	ds_read_u16 v49, v2 offset:1056
	ds_read_u16 v50, v2 offset:1584
	ds_read_u16 v6, v4
	ds_read_u16 v20, v2
	ds_read_u16 v52, v2 offset:352
	ds_read_u16 v54, v2 offset:1144
	;; [unrolled: 1-line block ×4, first 2 shown]
	ds_read_u16 v5, v13
	ds_read_u16 v92, v2 offset:968
	ds_read_u16 v62, v2 offset:880
	;; [unrolled: 1-line block ×9, first 2 shown]
	v_add3_u32 v0, 0, v0, v29
	s_waitcnt vmcnt(0) lgkmcnt(0)
	s_barrier
	buffer_gl0_inv
	v_mul_f16_sdwa v60, v18, v21 dst_sel:DWORD dst_unused:UNUSED_PAD src0_sel:DWORD src1_sel:WORD_1
	v_mul_f16_sdwa v64, v19, v22 dst_sel:DWORD dst_unused:UNUSED_PAD src0_sel:DWORD src1_sel:WORD_1
	;; [unrolled: 1-line block ×26, first 2 shown]
	v_fma_f16 v68, v77, v21, -v60
	v_fma_f16 v67, v76, v22, -v64
	;; [unrolled: 1-line block ×4, first 2 shown]
	v_mul_f16_sdwa v101, v62, v27 dst_sel:DWORD dst_unused:UNUSED_PAD src0_sel:DWORD src1_sel:WORD_1
	v_mul_f16_sdwa v102, v54, v28 dst_sel:DWORD dst_unused:UNUSED_PAD src0_sel:DWORD src1_sel:WORD_1
	v_mul_f16_sdwa v7, v84, v38 dst_sel:DWORD dst_unused:UNUSED_PAD src0_sel:DWORD src1_sel:WORD_1
	v_mul_f16_sdwa v12, v82, v39 dst_sel:DWORD dst_unused:UNUSED_PAD src0_sel:DWORD src1_sel:WORD_1
	v_mul_f16_sdwa v13, v80, v40 dst_sel:DWORD dst_unused:UNUSED_PAD src0_sel:DWORD src1_sel:WORD_1
	v_mul_f16_sdwa v29, v91, v41 dst_sel:DWORD dst_unused:UNUSED_PAD src0_sel:DWORD src1_sel:WORD_1
	v_mul_f16_sdwa v30, v88, v46 dst_sel:DWORD dst_unused:UNUSED_PAD src0_sel:DWORD src1_sel:WORD_1
	v_mul_f16_sdwa v31, v85, v47 dst_sel:DWORD dst_unused:UNUSED_PAD src0_sel:DWORD src1_sel:WORD_1
	v_mul_f16_sdwa v107, v92, v40 dst_sel:DWORD dst_unused:UNUSED_PAD src0_sel:DWORD src1_sel:WORD_1
	v_mul_f16_sdwa v108, v98, v41 dst_sel:DWORD dst_unused:UNUSED_PAD src0_sel:DWORD src1_sel:WORD_1
	v_fmac_f16_e32 v56, v18, v21
	v_fmac_f16_e32 v57, v19, v22
	v_fma_f16 v69, v35, v23, -v69
	v_fmac_f16_e32 v55, v48, v23
	v_fma_f16 v70, v79, v24, -v70
	v_fmac_f16_e32 v58, v49, v24
	v_fmac_f16_e32 v63, v59, v42
	v_fmac_f16_e32 v65, v50, v43
	v_fma_f16 v60, v37, v25, -v99
	v_fmac_f16_e32 v33, v52, v25
	v_fma_f16 v59, v83, v26, -v100
	v_fmac_f16_e32 v34, v61, v26
	;; [unrolled: 6-line block ×3, first 2 shown]
	v_fma_f16 v37, v84, v38, -v105
	v_fma_f16 v35, v82, v39, -v106
	;; [unrolled: 1-line block ×4, first 2 shown]
	v_add_f16_e32 v18, v68, v72
	v_add_f16_e32 v21, v67, v71
	v_fma_f16 v61, v81, v27, -v101
	v_fma_f16 v62, v75, v28, -v102
	v_fmac_f16_e32 v7, v94, v38
	v_fmac_f16_e32 v12, v93, v39
	;; [unrolled: 1-line block ×6, first 2 shown]
	v_fma_f16 v49, v80, v40, -v107
	v_fma_f16 v50, v91, v41, -v108
	v_sub_f16_e32 v19, v56, v65
	v_sub_f16_e32 v22, v57, v63
	v_add_f16_e32 v23, v69, v70
	v_sub_f16_e32 v24, v58, v55
	v_add_f16_e32 v25, v60, v66
	;; [unrolled: 2-line block ×3, first 2 shown]
	v_sub_f16_e32 v28, v34, v51
	v_sub_f16_e32 v39, v36, v32
	v_add_f16_e32 v40, v37, v54
	v_add_f16_e32 v42, v35, v52
	;; [unrolled: 1-line block ×4, first 2 shown]
	v_sub_f16_e32 v41, v7, v31
	v_sub_f16_e32 v43, v12, v30
	;; [unrolled: 1-line block ×3, first 2 shown]
	v_add_f16_e32 v44, v49, v50
	v_sub_f16_e32 v47, v21, v18
	v_sub_f16_e32 v18, v18, v23
	;; [unrolled: 1-line block ×3, first 2 shown]
	v_add_f16_e32 v48, v24, v22
	v_sub_f16_e32 v75, v24, v22
	v_sub_f16_e32 v22, v22, v19
	v_add_f16_e32 v76, v27, v25
	v_add_f16_e32 v79, v39, v28
	v_sub_f16_e32 v80, v39, v28
	v_sub_f16_e32 v28, v28, v26
	v_add_f16_e32 v81, v42, v40
	v_add_f16_e32 v23, v23, v46
	v_sub_f16_e32 v77, v27, v25
	v_sub_f16_e32 v25, v25, v38
	;; [unrolled: 1-line block ×3, first 2 shown]
	v_add_f16_e32 v83, v45, v43
	v_sub_f16_e32 v84, v45, v43
	v_sub_f16_e32 v43, v43, v41
	;; [unrolled: 1-line block ×7, first 2 shown]
	v_add_f16_e32 v46, v48, v19
	v_mul_f16_e32 v18, 0x3a52, v18
	v_mul_f16_e32 v19, 0x2b26, v21
	;; [unrolled: 1-line block ×4, first 2 shown]
	v_add_f16_e32 v38, v38, v76
	v_add_f16_e32 v26, v79, v26
	v_mul_f16_e32 v79, 0xb846, v80
	v_mul_f16_e32 v80, 0x3b00, v28
	v_add_f16_e32 v44, v44, v81
	v_add_f16_e32 v74, v74, v23
	v_sub_f16_e32 v45, v41, v45
	v_mul_f16_e32 v25, 0x3a52, v25
	v_mul_f16_e32 v76, 0x2b26, v27
	v_add_f16_e32 v41, v83, v41
	v_mul_f16_e32 v83, 0xb846, v84
	v_mul_f16_e32 v84, 0x3b00, v43
	;; [unrolled: 1-line block ×4, first 2 shown]
	v_fmamk_f16 v21, v21, 0x2b26, v18
	v_fma_f16 v85, v47, 0x39e0, -v19
	v_fma_f16 v18, v47, 0xb9e0, -v18
	v_fmamk_f16 v47, v24, 0x3574, v48
	v_fma_f16 v22, v22, 0x3b00, -v48
	v_fma_f16 v24, v24, 0xb574, -v75
	v_add_f16_e32 v48, v73, v38
	v_fmamk_f16 v75, v39, 0x3574, v79
	v_fma_f16 v28, v28, 0x3b00, -v79
	v_fma_f16 v39, v39, 0xb574, -v80
	v_add_f16_e32 v19, v78, v44
	v_fmamk_f16 v23, v23, 0xbcab, v74
	v_fmamk_f16 v27, v27, 0x2b26, v25
	v_fma_f16 v73, v77, 0x39e0, -v76
	v_fma_f16 v25, v77, 0xb9e0, -v25
	v_fmamk_f16 v77, v45, 0x3574, v83
	v_fma_f16 v43, v43, 0x3b00, -v83
	v_fma_f16 v45, v45, 0xb574, -v84
	;; [unrolled: 3-line block ×3, first 2 shown]
	v_fmac_f16_e32 v47, 0x370e, v46
	v_fmamk_f16 v38, v38, 0xbcab, v48
	v_fmac_f16_e32 v75, 0x370e, v26
	v_fmac_f16_e32 v28, 0x370e, v26
	;; [unrolled: 1-line block ×3, first 2 shown]
	v_fmamk_f16 v26, v44, 0xbcab, v19
	v_add_f16_e32 v21, v21, v23
	v_fmac_f16_e32 v24, 0x370e, v46
	v_add_f16_e32 v18, v18, v23
	v_fmac_f16_e32 v22, 0x370e, v46
	v_fmac_f16_e32 v77, 0x370e, v41
	;; [unrolled: 1-line block ×4, first 2 shown]
	v_add_f16_e32 v41, v85, v23
	v_add_f16_e32 v23, v27, v38
	;; [unrolled: 1-line block ×9, first 2 shown]
	v_sub_f16_e32 v46, v41, v22
	v_add_f16_e32 v41, v22, v41
	v_sub_f16_e32 v73, v18, v24
	v_sub_f16_e32 v47, v21, v47
	ds_write_b16 v3, v74
	v_add_f16_e32 v74, v75, v23
	v_add_f16_e32 v76, v39, v25
	v_sub_f16_e32 v78, v27, v28
	v_add_f16_e32 v18, v28, v27
	v_sub_f16_e32 v27, v25, v39
	v_sub_f16_e32 v28, v23, v75
	v_add_f16_e32 v21, v77, v38
	v_add_f16_e32 v22, v45, v26
	v_sub_f16_e32 v23, v42, v43
	v_add_f16_e32 v24, v43, v42
	v_sub_f16_e32 v25, v26, v45
	v_sub_f16_e32 v26, v38, v77
	ds_write_b16 v3, v40 offset:24
	ds_write_b16 v3, v44 offset:48
	;; [unrolled: 1-line block ×6, first 2 shown]
	ds_write_b16 v1, v48
	ds_write_b16 v1, v74 offset:24
	ds_write_b16 v1, v76 offset:48
	;; [unrolled: 1-line block ×6, first 2 shown]
	ds_write_b16 v0, v19
	ds_write_b16 v0, v21 offset:24
	ds_write_b16 v0, v22 offset:48
	ds_write_b16 v0, v23 offset:72
	ds_write_b16 v0, v24 offset:96
	ds_write_b16 v0, v25 offset:120
	ds_write_b16 v0, v26 offset:144
	s_waitcnt lgkmcnt(0)
	s_barrier
	buffer_gl0_inv
	ds_read_u16 v38, v2
	ds_read_u16 v45, v2 offset:168
	ds_read_u16 v44, v2 offset:336
	;; [unrolled: 1-line block ×10, first 2 shown]
	s_and_saveexec_b32 s1, s0
	s_cbranch_execz .LBB0_29
; %bb.28:
	ds_read_u16 v27, v2 offset:256
	ds_read_u16 v28, v2 offset:424
	;; [unrolled: 1-line block ×9, first 2 shown]
	ds_read_u16 v18, v4
	ds_read_u16 v16, v2 offset:1768
.LBB0_29:
	s_or_b32 exec_lo, exec_lo, s1
	v_add_f16_e32 v56, v56, v65
	v_add_f16_e32 v57, v57, v63
	;; [unrolled: 1-line block ×3, first 2 shown]
	v_sub_f16_e32 v58, v67, v71
	v_sub_f16_e32 v65, v70, v69
	;; [unrolled: 1-line block ×3, first 2 shown]
	v_add_f16_e32 v67, v57, v56
	v_sub_f16_e32 v68, v57, v56
	v_sub_f16_e32 v56, v56, v55
	;; [unrolled: 1-line block ×3, first 2 shown]
	v_add_f16_e32 v69, v65, v58
	v_add_f16_e32 v55, v55, v67
	v_sub_f16_e32 v67, v65, v58
	v_sub_f16_e32 v65, v63, v65
	;; [unrolled: 1-line block ×3, first 2 shown]
	v_add_f16_e32 v63, v69, v63
	v_add_f16_e32 v69, v20, v55
	v_mul_f16_e32 v20, 0x3a52, v56
	v_mul_f16_e32 v56, 0x2b26, v57
	;; [unrolled: 1-line block ×4, first 2 shown]
	v_fmamk_f16 v55, v55, 0xbcab, v69
	v_add_f16_e32 v33, v33, v53
	v_fma_f16 v56, v68, 0x39e0, -v56
	v_fma_f16 v58, v58, 0x3b00, -v67
	v_add_f16_e32 v34, v34, v51
	v_fmamk_f16 v57, v57, 0x2b26, v20
	v_fma_f16 v20, v68, 0xb9e0, -v20
	v_add_f16_e32 v56, v56, v55
	v_fmac_f16_e32 v58, 0x370e, v63
	v_fmamk_f16 v68, v65, 0x3574, v67
	v_add_f16_e32 v32, v32, v36
	v_sub_f16_e32 v36, v59, v64
	v_sub_f16_e32 v53, v62, v61
	v_add_f16_e32 v67, v58, v56
	v_sub_f16_e32 v56, v56, v58
	v_add_f16_e32 v58, v34, v33
	v_sub_f16_e32 v51, v60, v66
	v_sub_f16_e32 v59, v34, v33
	;; [unrolled: 1-line block ×4, first 2 shown]
	v_add_f16_e32 v60, v53, v36
	v_add_f16_e32 v32, v32, v58
	v_sub_f16_e32 v58, v53, v36
	v_sub_f16_e32 v53, v51, v53
	;; [unrolled: 1-line block ×3, first 2 shown]
	v_add_f16_e32 v51, v60, v51
	v_add_f16_e32 v6, v6, v32
	v_mul_f16_e32 v33, 0x3a52, v33
	v_mul_f16_e32 v60, 0x2b26, v34
	;; [unrolled: 1-line block ×3, first 2 shown]
	v_fma_f16 v65, v65, 0xb574, -v70
	v_mul_f16_e32 v61, 0x3b00, v36
	v_fmamk_f16 v32, v32, 0xbcab, v6
	v_fmamk_f16 v34, v34, 0x2b26, v33
	v_fma_f16 v60, v59, 0x39e0, -v60
	v_fma_f16 v33, v59, 0xb9e0, -v33
	v_fma_f16 v36, v36, 0x3b00, -v58
	v_add_f16_e32 v7, v7, v31
	v_add_f16_e32 v12, v12, v30
	;; [unrolled: 1-line block ×3, first 2 shown]
	v_fmac_f16_e32 v65, 0x370e, v63
	v_fmamk_f16 v59, v53, 0x3574, v58
	v_fma_f16 v53, v53, 0xb574, -v61
	v_add_f16_e32 v34, v34, v32
	v_add_f16_e32 v58, v60, v32
	;; [unrolled: 1-line block ×3, first 2 shown]
	v_fmac_f16_e32 v36, 0x370e, v51
	v_sub_f16_e32 v30, v37, v54
	v_add_f16_e32 v13, v13, v29
	v_sub_f16_e32 v29, v35, v52
	v_sub_f16_e32 v31, v50, v49
	v_add_f16_e32 v33, v12, v7
	v_fmac_f16_e32 v68, 0x370e, v63
	v_sub_f16_e32 v63, v20, v65
	v_fmac_f16_e32 v59, 0x370e, v51
	v_fmac_f16_e32 v53, 0x370e, v51
	v_add_f16_e32 v51, v65, v20
	v_add_f16_e32 v62, v36, v58
	v_sub_f16_e32 v20, v58, v36
	v_sub_f16_e32 v35, v12, v7
	;; [unrolled: 1-line block ×4, first 2 shown]
	v_add_f16_e32 v36, v31, v29
	v_add_f16_e32 v13, v13, v33
	v_sub_f16_e32 v33, v31, v29
	v_sub_f16_e32 v37, v29, v30
	;; [unrolled: 1-line block ×3, first 2 shown]
	v_add_f16_e32 v30, v36, v30
	v_add_f16_e32 v29, v5, v13
	v_mul_f16_e32 v5, 0x3a52, v7
	v_mul_f16_e32 v7, 0x2b26, v12
	;; [unrolled: 1-line block ×4, first 2 shown]
	v_fmamk_f16 v13, v13, 0xbcab, v29
	v_fmamk_f16 v12, v12, 0x2b26, v5
	v_fma_f16 v7, v35, 0x39e0, -v7
	v_fma_f16 v5, v35, 0xb9e0, -v5
	v_fmamk_f16 v49, v31, 0x3574, v33
	v_fma_f16 v35, v37, 0x3b00, -v33
	v_fma_f16 v50, v31, 0xb574, -v36
	v_add_f16_e32 v57, v57, v55
	v_add_f16_e32 v12, v12, v13
	;; [unrolled: 1-line block ×4, first 2 shown]
	v_fmac_f16_e32 v49, 0x370e, v30
	v_fmac_f16_e32 v50, 0x370e, v30
	;; [unrolled: 1-line block ×3, first 2 shown]
	v_sub_f16_e32 v55, v57, v68
	v_add_f16_e32 v57, v68, v57
	v_sub_f16_e32 v60, v34, v59
	v_sub_f16_e32 v61, v32, v53
	v_add_f16_e32 v36, v53, v32
	v_add_f16_e32 v37, v59, v34
	v_sub_f16_e32 v31, v12, v49
	v_sub_f16_e32 v32, v5, v50
	v_add_f16_e32 v33, v35, v7
	v_sub_f16_e32 v34, v7, v35
	v_add_f16_e32 v35, v50, v5
	v_add_f16_e32 v30, v49, v12
	s_waitcnt lgkmcnt(0)
	s_barrier
	buffer_gl0_inv
	ds_write_b16 v3, v69
	ds_write_b16 v3, v55 offset:24
	ds_write_b16 v3, v63 offset:48
	ds_write_b16 v3, v67 offset:72
	ds_write_b16 v3, v56 offset:96
	ds_write_b16 v3, v51 offset:120
	ds_write_b16 v3, v57 offset:144
	ds_write_b16 v1, v6
	ds_write_b16 v1, v60 offset:24
	ds_write_b16 v1, v61 offset:48
	ds_write_b16 v1, v62 offset:72
	ds_write_b16 v1, v20 offset:96
	ds_write_b16 v1, v36 offset:120
	ds_write_b16 v1, v37 offset:144
	ds_write_b16 v0, v29
	ds_write_b16 v0, v31 offset:24
	ds_write_b16 v0, v32 offset:48
	ds_write_b16 v0, v33 offset:72
	ds_write_b16 v0, v34 offset:96
	ds_write_b16 v0, v35 offset:120
	ds_write_b16 v0, v30 offset:144
	s_waitcnt lgkmcnt(0)
	s_barrier
	buffer_gl0_inv
	ds_read_u16 v49, v2
	ds_read_u16 v58, v2 offset:168
	ds_read_u16 v56, v2 offset:336
	;; [unrolled: 1-line block ×10, first 2 shown]
	s_and_saveexec_b32 s1, s0
	s_cbranch_execz .LBB0_31
; %bb.30:
	ds_read_u16 v36, v2 offset:256
	ds_read_u16 v37, v2 offset:424
	;; [unrolled: 1-line block ×9, first 2 shown]
	ds_read_u16 v20, v4
	ds_read_u16 v17, v2 offset:1768
.LBB0_31:
	s_or_b32 exec_lo, exec_lo, s1
	s_and_saveexec_b32 s1, vcc_lo
	s_cbranch_execz .LBB0_34
; %bb.32:
	v_mul_u32_u24_e32 v0, 10, v14
	v_lshrrev_b32_e32 v50, 2, v14
	v_mul_lo_u32 v63, s5, v10
	v_mul_lo_u32 v64, s4, v11
	v_mad_u64_u32 v[10:11], null, s4, v10, 0
	v_lshlrev_b32_e32 v4, 2, v0
	v_mul_hi_u32 v50, 0x30c30c31, v50
	v_lshlrev_b64 v[65:66], 2, v[8:9]
	s_clause 0x2
	global_load_dwordx2 v[12:13], v4, s[8:9] offset:360
	global_load_dwordx4 v[0:3], v4, s[8:9] offset:328
	global_load_dwordx4 v[4:7], v4, s[8:9] offset:344
	v_add3_u32 v11, v11, v64, v63
	v_lshrrev_b32_e32 v50, 2, v50
	v_lshlrev_b64 v[8:9], 2, v[10:11]
	v_mul_lo_u32 v50, 0x54, v50
	v_sub_nc_u32_e32 v50, v14, v50
	v_add_nc_u32_e32 v67, 0x54, v50
	v_mad_u64_u32 v[61:62], null, s2, v50, 0
	v_add_nc_u32_e32 v69, 0xa8, v50
	v_add_nc_u32_e32 v71, 0x150, v50
	v_mad_u64_u32 v[63:64], null, s2, v67, 0
	v_mad_u64_u32 v[10:11], null, s3, v50, v[62:63]
	v_mov_b32_e32 v11, v64
	v_add_co_u32 v64, vcc_lo, s14, v8
	v_add_co_ci_u32_e32 v70, vcc_lo, s15, v9, vcc_lo
	v_mad_u64_u32 v[8:9], null, s2, v69, 0
	v_mov_b32_e32 v62, v10
	v_add_co_u32 v10, vcc_lo, v64, v65
	v_lshlrev_b64 v[61:62], 2, v[61:62]
	s_waitcnt vmcnt(2)
	v_mad_u64_u32 v[67:68], null, s3, v67, v[11:12]
	s_waitcnt vmcnt(1)
	v_lshrrev_b32_e32 v72, 16, v0
	v_lshrrev_b32_e32 v73, 16, v1
	s_waitcnt lgkmcnt(9)
	v_mul_f16_e32 v76, v58, v0
	s_waitcnt vmcnt(0)
	v_lshrrev_b32_e32 v79, 16, v4
	v_lshrrev_b32_e32 v74, 16, v2
	v_mul_f16_e32 v58, v58, v72
	v_mov_b32_e32 v64, v67
	v_mad_u64_u32 v[67:68], null, s3, v69, v[9:10]
	v_lshrrev_b32_e32 v68, 16, v13
	s_waitcnt lgkmcnt(0)
	v_mul_f16_e32 v69, v60, v13
	v_lshrrev_b32_e32 v9, 16, v12
	v_mul_f16_e32 v77, v59, v12
	v_mul_f16_e32 v78, v56, v1
	;; [unrolled: 1-line block ×4, first 2 shown]
	v_fmac_f16_e32 v76, v45, v72
	v_mul_f16_e32 v56, v56, v73
	v_mul_f16_e32 v51, v51, v79
	v_fma_f16 v0, v45, v0, -v58
	v_fma_f16 v13, v48, v13, -v60
	v_lshrrev_b32_e32 v75, 16, v3
	v_mul_f16_e32 v84, v55, v2
	v_fmac_f16_e32 v69, v48, v68
	v_fmac_f16_e32 v77, v47, v9
	;; [unrolled: 1-line block ×3, first 2 shown]
	v_mul_f16_e32 v9, v59, v9
	v_mul_f16_e32 v55, v55, v74
	v_fma_f16 v1, v44, v1, -v56
	v_fma_f16 v4, v39, v4, -v51
	v_add_f16_e32 v44, v49, v76
	v_sub_f16_e32 v51, v0, v13
	v_add_f16_e32 v68, v13, v0
	v_add_f16_e32 v0, v38, v0
	v_lshrrev_b32_e32 v80, 16, v5
	v_lshrrev_b32_e32 v81, 16, v6
	;; [unrolled: 1-line block ×3, first 2 shown]
	v_mul_f16_e32 v83, v57, v7
	v_mul_f16_e32 v85, v54, v6
	;; [unrolled: 1-line block ×4, first 2 shown]
	v_fmac_f16_e32 v84, v42, v74
	v_mul_f16_e32 v53, v53, v75
	v_fma_f16 v9, v47, v12, -v9
	v_fma_f16 v2, v42, v2, -v55
	v_add_f16_e32 v44, v44, v78
	v_add_f16_e32 v0, v0, v1
	v_fmac_f16_e32 v83, v46, v82
	v_mul_f16_e32 v57, v57, v82
	v_fmac_f16_e32 v85, v43, v81
	v_fmac_f16_e32 v86, v41, v75
	v_mul_f16_e32 v54, v54, v81
	v_fmac_f16_e32 v87, v40, v80
	v_fmac_f16_e32 v88, v39, v79
	v_mul_f16_e32 v52, v52, v80
	v_fma_f16 v3, v41, v3, -v53
	v_sub_f16_e32 v53, v1, v9
	v_add_f16_e32 v73, v9, v1
	v_add_f16_e32 v1, v44, v84
	v_add_f16_e32 v0, v0, v2
	v_add_f16_e32 v59, v69, v76
	v_sub_f16_e32 v39, v76, v69
	v_add_f16_e32 v45, v77, v78
	v_add_f16_e32 v12, v83, v84
	v_fma_f16 v7, v46, v7, -v57
	v_add_f16_e32 v42, v85, v86
	v_fma_f16 v6, v43, v6, -v54
	;; [unrolled: 2-line block ×3, first 2 shown]
	v_add_f16_e32 v1, v1, v86
	v_add_f16_e32 v0, v0, v3
	v_sub_f16_e32 v40, v78, v77
	v_sub_f16_e32 v43, v84, v83
	;; [unrolled: 1-line block ×4, first 2 shown]
	v_mul_f16_e32 v48, 0x3abb, v59
	v_mul_f16_e32 v72, 0xb853, v39
	;; [unrolled: 1-line block ×8, first 2 shown]
	v_sub_f16_e32 v55, v2, v7
	v_mul_f16_e32 v56, 0xb93d, v42
	v_sub_f16_e32 v57, v3, v6
	v_mul_f16_e32 v58, 0xbbad, v41
	;; [unrolled: 2-line block ×3, first 2 shown]
	v_mul_f16_e32 v80, 0xbbad, v12
	v_mul_f16_e32 v81, 0xb08e, v42
	;; [unrolled: 1-line block ×19, first 2 shown]
	v_add_f16_e32 v1, v1, v88
	v_add_f16_e32 v0, v0, v4
	v_mul_f16_e32 v74, 0xbb47, v40
	v_mul_f16_e32 v75, 0xbbeb, v43
	;; [unrolled: 1-line block ×10, first 2 shown]
	v_add_f16_e32 v107, v7, v2
	v_mul_f16_e32 v108, 0xba0c, v46
	v_mul_f16_e32 v109, 0x3beb, v46
	;; [unrolled: 1-line block ×5, first 2 shown]
	v_add_f16_e32 v112, v6, v3
	v_mul_f16_e32 v113, 0xb482, v47
	v_mul_f16_e32 v114, 0x3853, v47
	;; [unrolled: 1-line block ×5, first 2 shown]
	v_add_f16_e32 v117, v5, v4
	v_fmamk_f16 v118, v51, 0x3853, v48
	v_fmamk_f16 v123, v68, 0x3abb, v72
	;; [unrolled: 1-line block ×6, first 2 shown]
	v_fmac_f16_e32 v59, 0xb482, v51
	v_fmac_f16_e32 v100, 0xba0c, v51
	;; [unrolled: 1-line block ×5, first 2 shown]
	v_fmamk_f16 v119, v53, 0x3b47, v52
	v_fmamk_f16 v120, v55, 0x3beb, v54
	;; [unrolled: 1-line block ×20, first 2 shown]
	v_fmac_f16_e32 v45, 0x3853, v53
	v_fmac_f16_e32 v101, 0x3beb, v53
	v_fmac_f16_e32 v93, 0x3482, v53
	v_fmac_f16_e32 v79, 0xba0c, v53
	v_fmac_f16_e32 v52, 0xbb47, v53
	v_fmamk_f16 v53, v55, 0x3a0c, v12
	v_fmac_f16_e32 v12, 0xba0c, v55
	v_fmac_f16_e32 v102, 0xb853, v55
	v_fmac_f16_e32 v94, 0x3b47, v55
	v_fmac_f16_e32 v80, 0x3482, v55
	v_fmac_f16_e32 v54, 0xbbeb, v55
	v_fmamk_f16 v55, v57, 0xbb47, v42
	;; [unrolled: 6-line block ×4, first 2 shown]
	v_fma_f16 v39, v68, 0xbbad, -v39
	v_fma_f16 v105, v68, 0xb93d, -v105
	;; [unrolled: 1-line block ×5, first 2 shown]
	v_add_f16_e32 v1, v87, v1
	v_add_f16_e32 v0, v5, v0
	v_fmamk_f16 v124, v73, 0x36a6, v74
	v_fmamk_f16 v131, v73, 0xb93d, v90
	;; [unrolled: 1-line block ×5, first 2 shown]
	v_fma_f16 v40, v73, 0x3abb, -v40
	v_fma_f16 v106, v73, 0xb08e, -v106
	;; [unrolled: 1-line block ×5, first 2 shown]
	v_fmamk_f16 v74, v107, 0xb93d, v43
	v_fma_f16 v43, v107, 0xb93d, -v43
	v_fmamk_f16 v147, v107, 0x3abb, v78
	v_fma_f16 v78, v107, 0x3abb, -v78
	;; [unrolled: 2-line block ×15, first 2 shown]
	v_add_f16_e32 v44, v49, v118
	v_add_f16_e32 v84, v49, v125
	;; [unrolled: 1-line block ×30, first 2 shown]
	v_add_co_ci_u32_e32 v11, vcc_lo, v70, v66, vcc_lo
	v_add_nc_u32_e32 v70, 0xfc, v50
	v_add_f16_e32 v51, v125, v51
	v_add_f16_e32 v60, v60, v72
	v_add_f16_e32 v39, v39, v40
	v_add_f16_e32 v59, v105, v106
	v_add_f16_e32 v72, v92, v93
	v_add_f16_e32 v92, v97, v98
	v_add_f16_e32 v76, v76, v79
	v_add_f16_e32 v3, v44, v150
	v_add_f16_e32 v44, v49, v127
	v_add_f16_e32 v48, v48, v54
	v_add_f16_e32 v38, v38, v75
	v_add_f16_e32 v2, v2, v120
	v_add_f16_e32 v12, v45, v12
	v_add_f16_e32 v1, v77, v1
	v_add_f16_e32 v0, v9, v0
	v_mad_u64_u32 v[65:66], null, s2, v70, 0
	v_add_f16_e32 v51, v51, v53
	v_add_f16_e32 v53, v60, v74
	;; [unrolled: 1-line block ×11, first 2 shown]
	v_lshlrev_b64 v[63:64], 2, v[63:64]
	v_add_f16_e32 v2, v2, v121
	v_add_f16_e32 v12, v12, v42
	;; [unrolled: 1-line block ×11, first 2 shown]
	v_mad_u64_u32 v[3:4], null, s2, v71, 0
	v_add_co_u32 v61, vcc_lo, v10, v61
	v_add_f16_e32 v79, v89, v90
	v_add_f16_e32 v5, v48, v58
	;; [unrolled: 1-line block ×3, first 2 shown]
	v_add_co_ci_u32_e32 v62, vcc_lo, v11, v62, vcc_lo
	v_add_f16_e32 v56, v2, v122
	v_mov_b32_e32 v2, v66
	v_add_f16_e32 v41, v12, v41
	v_pack_b32_f16 v12, v0, v1
	v_add_co_u32 v0, vcc_lo, v10, v63
	v_mov_b32_e32 v9, v67
	v_add_f16_e32 v72, v79, v91
	v_add_co_ci_u32_e32 v1, vcc_lo, v11, v64, vcc_lo
	v_pack_b32_f16 v13, v6, v5
	v_mad_u64_u32 v[5:6], null, s3, v70, v[2:3]
	global_store_dword v[61:62], v12, off
	global_store_dword v[0:1], v13, off
	v_lshlrev_b64 v[1:2], 2, v[8:9]
	v_add_f16_e32 v51, v51, v55
	v_add_f16_e32 v55, v72, v109
	v_mov_b32_e32 v0, v4
	v_add_nc_u32_e32 v9, 0x1a4, v50
	v_add_f16_e32 v40, v100, v101
	v_add_f16_e32 v7, v46, v82
	;; [unrolled: 1-line block ×3, first 2 shown]
	v_mov_b32_e32 v66, v5
	v_mad_u64_u32 v[4:5], null, s3, v71, v[0:1]
	v_mad_u64_u32 v[5:6], null, s2, v9, 0
	v_add_nc_u32_e32 v46, 0x1f8, v50
	v_add_f16_e32 v40, v40, v102
	v_add_f16_e32 v47, v39, v47
	;; [unrolled: 1-line block ×4, first 2 shown]
	v_pack_b32_f16 v45, v38, v7
	v_lshlrev_b64 v[7:8], 2, v[65:66]
	v_mad_u64_u32 v[12:13], null, s2, v46, 0
	v_add_co_u32 v0, vcc_lo, v10, v1
	v_lshlrev_b64 v[3:4], 2, v[3:4]
	v_add_f16_e32 v40, v40, v103
	v_add_co_ci_u32_e32 v1, vcc_lo, v11, v2, vcc_lo
	v_mov_b32_e32 v2, v6
	v_add_co_u32 v7, vcc_lo, v10, v7
	v_add_co_ci_u32_e32 v8, vcc_lo, v11, v8, vcc_lo
	v_add_f16_e32 v40, v40, v104
	v_add_f16_e32 v42, v42, v116
	v_pack_b32_f16 v43, v43, v39
	v_mad_u64_u32 v[38:39], null, s3, v9, v[2:3]
	v_mov_b32_e32 v2, v13
	v_add_co_u32 v3, vcc_lo, v10, v3
	v_pack_b32_f16 v9, v42, v40
	v_add_co_ci_u32_e32 v4, vcc_lo, v11, v4, vcc_lo
	v_mad_u64_u32 v[39:40], null, s3, v46, v[2:3]
	v_mov_b32_e32 v6, v38
	global_store_dword v[0:1], v45, off
	global_store_dword v[7:8], v43, off
	;; [unrolled: 1-line block ×3, first 2 shown]
	v_add_nc_u32_e32 v8, 0x24c, v50
	v_add_nc_u32_e32 v38, 0x2a0, v50
	;; [unrolled: 1-line block ×3, first 2 shown]
	v_lshlrev_b64 v[0:1], 2, v[5:6]
	v_mov_b32_e32 v13, v39
	v_mad_u64_u32 v[2:3], null, s2, v8, 0
	v_mad_u64_u32 v[4:5], null, s2, v38, 0
	v_lshlrev_b64 v[6:7], 2, v[12:13]
	v_add_f16_e32 v53, v53, v107
	v_add_co_u32 v0, vcc_lo, v10, v0
	v_pack_b32_f16 v42, v47, v41
	v_add_co_ci_u32_e32 v1, vcc_lo, v11, v1, vcc_lo
	v_mad_u64_u32 v[8:9], null, s3, v8, v[3:4]
	v_mad_u64_u32 v[12:13], null, s3, v38, v[5:6]
	v_add_nc_u32_e32 v13, 0x348, v50
	v_mad_u64_u32 v[38:39], null, s2, v43, 0
	v_add_f16_e32 v51, v51, v57
	v_mov_b32_e32 v3, v8
	v_mad_u64_u32 v[40:41], null, s2, v13, 0
	v_add_f16_e32 v53, v53, v112
	v_add_co_u32 v6, vcc_lo, v10, v6
	v_mov_b32_e32 v9, v39
	global_store_dword v[0:1], v42, off
	v_lshlrev_b64 v[1:2], 2, v[2:3]
	v_add_co_ci_u32_e32 v7, vcc_lo, v11, v7, vcc_lo
	v_pack_b32_f16 v39, v53, v51
	v_mov_b32_e32 v5, v12
	v_mov_b32_e32 v0, v41
	v_mad_u64_u32 v[8:9], null, s3, v43, v[9:10]
	global_store_dword v[6:7], v39, off
	v_lshlrev_b64 v[3:4], 2, v[4:5]
	v_mad_u64_u32 v[5:6], null, s3, v13, v[0:1]
	v_add_f16_e32 v68, v123, v131
	v_add_f16_e32 v84, v117, v133
	;; [unrolled: 1-line block ×5, first 2 shown]
	v_mov_b32_e32 v39, v8
	v_add_f16_e32 v49, v68, v149
	v_add_f16_e32 v52, v84, v134
	;; [unrolled: 1-line block ×5, first 2 shown]
	v_mov_b32_e32 v41, v5
	v_add_co_u32 v1, vcc_lo, v10, v1
	v_lshlrev_b64 v[6:7], 2, v[38:39]
	v_add_f16_e32 v44, v49, v153
	v_add_f16_e32 v49, v52, v135
	;; [unrolled: 1-line block ×5, first 2 shown]
	v_add_co_ci_u32_e32 v2, vcc_lo, v11, v2, vcc_lo
	v_add_co_u32 v3, vcc_lo, v10, v3
	v_lshlrev_b64 v[8:9], 2, v[40:41]
	v_add_co_ci_u32_e32 v4, vcc_lo, v11, v4, vcc_lo
	v_add_co_u32 v5, vcc_lo, v10, v6
	v_add_f16_e32 v54, v54, v143
	v_add_f16_e32 v68, v68, v155
	v_add_nc_u32_e32 v0, 44, v14
	v_add_f16_e32 v49, v49, v136
	v_add_f16_e32 v52, v52, v156
	v_add_co_ci_u32_e32 v6, vcc_lo, v11, v7, vcc_lo
	v_add_f16_e32 v44, v44, v157
	v_add_co_u32 v7, vcc_lo, v10, v8
	v_add_co_ci_u32_e32 v8, vcc_lo, v11, v9, vcc_lo
	v_pack_b32_f16 v12, v68, v54
	v_cmp_gt_u32_e32 vcc_lo, 0x54, v0
	v_pack_b32_f16 v13, v52, v49
	v_pack_b32_f16 v38, v44, v60
	v_pack_b32_f16 v9, v59, v56
	global_store_dword v[1:2], v12, off
	global_store_dword v[3:4], v13, off
	;; [unrolled: 1-line block ×4, first 2 shown]
	s_and_b32 exec_lo, exec_lo, vcc_lo
	s_cbranch_execz .LBB0_34
; %bb.33:
	v_subrev_nc_u32_e32 v1, 40, v14
	v_mov_b32_e32 v2, 0
	v_mad_u64_u32 v[38:39], null, s2, v0, 0
	v_add_nc_u32_e32 v52, 0x80, v14
	v_cndmask_b32_e64 v1, v1, v15, s0
	v_add_nc_u32_e32 v53, 0xd4, v14
	v_add_nc_u32_e32 v54, 0x128, v14
	;; [unrolled: 1-line block ×3, first 2 shown]
	v_mad_u64_u32 v[40:41], null, s2, v52, 0
	v_mul_i32_i24_e32 v1, 10, v1
	v_mad_u64_u32 v[42:43], null, s2, v53, 0
	v_mad_u64_u32 v[44:45], null, s2, v54, 0
	v_lshlrev_b64 v[1:2], 2, v[1:2]
	v_mad_u64_u32 v[46:47], null, s2, v55, 0
	v_mov_b32_e32 v9, v39
	v_add_nc_u32_e32 v56, 0x1d0, v14
	v_add_co_u32 v12, vcc_lo, s8, v1
	v_add_co_ci_u32_e32 v13, vcc_lo, s9, v2, vcc_lo
	v_mad_u64_u32 v[50:51], null, s3, v0, v[9:10]
	s_clause 0x2
	global_load_dwordx4 v[1:4], v[12:13], off offset:328
	global_load_dwordx4 v[5:8], v[12:13], off offset:344
	global_load_dwordx2 v[12:13], v[12:13], off offset:360
	v_mov_b32_e32 v0, v41
	v_mov_b32_e32 v9, v43
	v_mad_u64_u32 v[48:49], null, s2, v56, 0
	v_mov_b32_e32 v15, v45
	v_mov_b32_e32 v39, v47
	;; [unrolled: 1-line block ×3, first 2 shown]
	s_waitcnt vmcnt(2)
	v_mad_u64_u32 v[51:52], null, s3, v52, v[0:1]
	v_mad_u64_u32 v[52:53], null, s3, v53, v[9:10]
	;; [unrolled: 1-line block ×4, first 2 shown]
	v_mul_f16_sdwa v0, v36, v1 dst_sel:DWORD dst_unused:UNUSED_PAD src0_sel:DWORD src1_sel:WORD_1
	v_mul_f16_sdwa v9, v27, v1 dst_sel:DWORD dst_unused:UNUSED_PAD src0_sel:DWORD src1_sel:WORD_1
	v_mad_u64_u32 v[55:56], null, s3, v56, v[41:42]
	v_mov_b32_e32 v39, v50
	v_mov_b32_e32 v41, v51
	v_mov_b32_e32 v43, v52
	v_mov_b32_e32 v45, v53
	v_mov_b32_e32 v47, v54
	v_mul_f16_sdwa v15, v37, v2 dst_sel:DWORD dst_unused:UNUSED_PAD src0_sel:DWORD src1_sel:WORD_1
	v_mul_f16_sdwa v49, v28, v2 dst_sel:DWORD dst_unused:UNUSED_PAD src0_sel:DWORD src1_sel:WORD_1
	;; [unrolled: 1-line block ×6, first 2 shown]
	s_waitcnt vmcnt(1)
	v_mul_f16_sdwa v54, v32, v5 dst_sel:DWORD dst_unused:UNUSED_PAD src0_sel:DWORD src1_sel:WORD_1
	v_mul_f16_sdwa v56, v22, v5 dst_sel:DWORD dst_unused:UNUSED_PAD src0_sel:DWORD src1_sel:WORD_1
	;; [unrolled: 1-line block ×8, first 2 shown]
	s_waitcnt vmcnt(0)
	v_mul_f16_sdwa v63, v30, v12 dst_sel:DWORD dst_unused:UNUSED_PAD src0_sel:DWORD src1_sel:WORD_1
	v_mul_f16_sdwa v64, v26, v12 dst_sel:DWORD dst_unused:UNUSED_PAD src0_sel:DWORD src1_sel:WORD_1
	;; [unrolled: 1-line block ×4, first 2 shown]
	v_fma_f16 v0, v27, v1, -v0
	v_fmac_f16_e32 v9, v36, v1
	v_fma_f16 v1, v28, v2, -v15
	v_fmac_f16_e32 v49, v37, v2
	;; [unrolled: 2-line block ×8, first 2 shown]
	v_fma_f16 v8, v26, v12, -v63
	v_fma_f16 v15, v16, v13, -v65
	v_fmac_f16_e32 v66, v17, v13
	v_fmac_f16_e32 v64, v30, v12
	v_add_f16_e32 v12, v18, v0
	v_add_f16_e32 v13, v20, v9
	;; [unrolled: 1-line block ×3, first 2 shown]
	v_sub_f16_e32 v22, v1, v8
	v_add_f16_e32 v24, v2, v7
	v_add_f16_e32 v1, v12, v1
	;; [unrolled: 1-line block ×3, first 2 shown]
	v_sub_f16_e32 v26, v2, v7
	v_add_f16_e32 v16, v0, v15
	v_add_f16_e32 v17, v9, v66
	;; [unrolled: 1-line block ×4, first 2 shown]
	v_sub_f16_e32 v0, v0, v15
	v_sub_f16_e32 v9, v9, v66
	;; [unrolled: 1-line block ×3, first 2 shown]
	v_add_f16_e32 v1, v1, v3
	v_add_f16_e32 v2, v2, v53
	v_mul_f16_e32 v36, 0xb853, v0
	v_mul_f16_e32 v13, 0xb853, v9
	v_add_f16_e32 v21, v49, v64
	v_sub_f16_e32 v27, v51, v62
	v_sub_f16_e32 v30, v3, v6
	;; [unrolled: 1-line block ×5, first 2 shown]
	v_mul_f16_e32 v37, 0xbb47, v9
	v_mul_f16_e32 v49, 0xbb47, v0
	;; [unrolled: 1-line block ×6, first 2 shown]
	v_add_f16_e32 v1, v1, v4
	v_add_f16_e32 v2, v2, v56
	;; [unrolled: 1-line block ×3, first 2 shown]
	v_mul_f16_e32 v9, 0xb482, v9
	v_mul_f16_e32 v0, 0xb482, v0
	;; [unrolled: 1-line block ×4, first 2 shown]
	v_fma_f16 v12, v16, 0x3abb, -v13
	v_fmamk_f16 v51, v17, 0x3abb, v36
	v_add_f16_e32 v28, v3, v6
	v_add_f16_e32 v29, v53, v60
	;; [unrolled: 1-line block ×4, first 2 shown]
	v_mul_f16_e32 v63, 0xba0c, v23
	v_mul_f16_e32 v65, 0xba0c, v22
	;; [unrolled: 1-line block ×38, first 2 shown]
	v_fmac_f16_e32 v13, 0x3abb, v16
	v_fma_f16 v36, v17, 0x3abb, -v36
	v_fma_f16 v95, v16, 0x36a6, -v37
	v_fmamk_f16 v96, v17, 0x36a6, v49
	v_fmac_f16_e32 v37, 0x36a6, v16
	v_fma_f16 v49, v17, 0x36a6, -v49
	v_fma_f16 v97, v16, 0xb08e, -v50
	v_fmamk_f16 v98, v17, 0xb08e, v52
	;; [unrolled: 4-line block ×3, first 2 shown]
	v_add_f16_e32 v1, v1, v5
	v_add_f16_e32 v2, v2, v58
	v_fmac_f16_e32 v54, 0xb93d, v16
	v_fma_f16 v57, v17, 0xb93d, -v57
	v_fma_f16 v101, v16, 0xbbad, -v9
	v_fmamk_f16 v102, v17, 0xbbad, v0
	v_fmac_f16_e32 v9, 0xbbad, v16
	v_fma_f16 v0, v17, 0xbbad, -v0
	v_fma_f16 v16, v19, 0x36a6, -v59
	v_fmamk_f16 v17, v21, 0x36a6, v61
	v_add_f16_e32 v3, v18, v12
	v_add_f16_e32 v12, v20, v51
	v_fmac_f16_e32 v59, 0x36a6, v19
	v_fma_f16 v61, v21, 0x36a6, -v61
	v_fma_f16 v103, v19, 0xb93d, -v63
	v_fmamk_f16 v104, v21, 0xb93d, v65
	v_fmac_f16_e32 v63, 0xb93d, v19
	v_fma_f16 v65, v21, 0xb93d, -v65
	v_fma_f16 v105, v19, 0xbbad, -v67
	v_fmamk_f16 v106, v21, 0xbbad, v68
	;; [unrolled: 4-line block ×19, first 2 shown]
	v_fmac_f16_e32 v35, 0xb08e, v32
	v_fma_f16 v32, v33, 0xb08e, -v34
	v_add_f16_e32 v13, v18, v13
	v_add_f16_e32 v33, v20, v36
	;; [unrolled: 1-line block ×17, first 2 shown]
	v_lshlrev_b64 v[38:39], 2, v[38:39]
	v_add_f16_e32 v54, v18, v54
	v_add_f16_e32 v57, v20, v57
	;; [unrolled: 1-line block ×21, first 2 shown]
	v_lshlrev_b64 v[40:41], 2, v[40:41]
	v_add_f16_e32 v0, v19, v0
	v_add_f16_e32 v9, v23, v9
	;; [unrolled: 1-line block ×16, first 2 shown]
	v_lshlrev_b64 v[42:43], 2, v[42:43]
	v_add_co_u32 v38, vcc_lo, v10, v38
	v_add_f16_e32 v3, v25, v3
	v_add_f16_e32 v4, v26, v4
	v_add_co_ci_u32_e32 v39, vcc_lo, v11, v39, vcc_lo
	v_add_f16_e32 v0, v24, v0
	v_lshlrev_b64 v[44:45], 2, v[44:45]
	v_add_co_u32 v40, vcc_lo, v10, v40
	v_add_f16_e32 v51, v69, v54
	v_add_f16_e32 v5, v79, v5
	;; [unrolled: 1-line block ×15, first 2 shown]
	v_add_co_ci_u32_e32 v41, vcc_lo, v11, v41, vcc_lo
	v_add_f16_e32 v3, v29, v3
	v_add_f16_e32 v4, v30, v4
	v_lshlrev_b64 v[46:47], 2, v[46:47]
	v_add_co_u32 v42, vcc_lo, v10, v42
	v_add_f16_e32 v0, v28, v0
	v_add_co_ci_u32_e32 v43, vcc_lo, v11, v43, vcc_lo
	v_add_co_u32 v44, vcc_lo, v10, v44
	v_add_f16_e32 v34, v77, v51
	v_add_f16_e32 v28, v87, v5
	;; [unrolled: 1-line block ×9, first 2 shown]
	v_pack_b32_f16 v1, v1, v2
	v_add_f16_e32 v54, v110, v98
	v_pack_b32_f16 v2, v3, v4
	v_add_co_ci_u32_e32 v45, vcc_lo, v11, v45, vcc_lo
	v_add_f16_e32 v52, v70, v57
	v_add_f16_e32 v53, v109, v97
	;; [unrolled: 1-line block ×3, first 2 shown]
	v_add_co_u32 v0, vcc_lo, v10, v46
	v_add_f16_e32 v24, v85, v34
	v_pack_b32_f16 v3, v5, v6
	v_pack_b32_f16 v4, v7, v12
	global_store_dword v[38:39], v1, off
	global_store_dword v[40:41], v2, off
	v_add_co_ci_u32_e32 v1, vcc_lo, v11, v47, vcc_lo
	v_pack_b32_f16 v2, v8, v13
	v_add_nc_u32_e32 v8, 0x224, v14
	v_add_nc_u32_e32 v12, 0x278, v14
	v_add_f16_e32 v49, v118, v54
	v_add_f16_e32 v36, v78, v52
	;; [unrolled: 1-line block ×6, first 2 shown]
	global_store_dword v[42:43], v3, off
	global_store_dword v[44:45], v4, off
	;; [unrolled: 1-line block ×3, first 2 shown]
	v_mad_u64_u32 v[2:3], null, s2, v8, 0
	v_mad_u64_u32 v[4:5], null, s2, v12, 0
	v_add_nc_u32_e32 v24, 0x2cc, v14
	v_add_f16_e32 v27, v126, v49
	v_mov_b32_e32 v49, v55
	v_add_f16_e32 v25, v86, v36
	v_add_f16_e32 v26, v125, v37
	;; [unrolled: 1-line block ×3, first 2 shown]
	v_mad_u64_u32 v[6:7], null, s2, v24, 0
	v_lshlrev_b64 v[0:1], 2, v[48:49]
	v_add_f16_e32 v30, v89, v16
	v_add_f16_e32 v19, v92, v21
	;; [unrolled: 1-line block ×6, first 2 shown]
	v_mad_u64_u32 v[8:9], null, s3, v8, v[3:4]
	v_add_nc_u32_e32 v25, 0x320, v14
	v_add_co_u32 v0, vcc_lo, v10, v0
	v_pack_b32_f16 v9, v15, v16
	v_mad_u64_u32 v[12:13], null, s3, v12, v[5:6]
	v_mov_b32_e32 v5, v7
	v_mad_u64_u32 v[15:16], null, s2, v25, 0
	v_add_co_ci_u32_e32 v1, vcc_lo, v11, v1, vcc_lo
	v_add_nc_u32_e32 v13, 0x374, v14
	v_mov_b32_e32 v3, v8
	v_mad_u64_u32 v[7:8], null, s3, v24, v[5:6]
	global_store_dword v[0:1], v9, off
	v_mad_u64_u32 v[8:9], null, s2, v13, 0
	v_lshlrev_b64 v[0:1], 2, v[2:3]
	v_mov_b32_e32 v5, v12
	v_mov_b32_e32 v2, v16
	v_lshlrev_b64 v[6:7], 2, v[6:7]
	v_add_f16_e32 v17, v90, v17
	v_pack_b32_f16 v14, v22, v23
	v_lshlrev_b64 v[4:5], 2, v[4:5]
	v_mad_u64_u32 v[2:3], null, s3, v25, v[2:3]
	v_mov_b32_e32 v3, v9
	v_add_co_u32 v0, vcc_lo, v10, v0
	v_add_co_ci_u32_e32 v1, vcc_lo, v11, v1, vcc_lo
	v_mad_u64_u32 v[12:13], null, s3, v13, v[3:4]
	v_mov_b32_e32 v16, v2
	v_add_co_u32 v2, vcc_lo, v10, v4
	v_add_co_ci_u32_e32 v3, vcc_lo, v11, v5, vcc_lo
	v_lshlrev_b64 v[4:5], 2, v[15:16]
	v_mov_b32_e32 v9, v12
	v_add_co_u32 v6, vcc_lo, v10, v6
	v_add_co_ci_u32_e32 v7, vcc_lo, v11, v7, vcc_lo
	v_lshlrev_b64 v[8:9], 2, v[8:9]
	v_add_co_u32 v4, vcc_lo, v10, v4
	v_pack_b32_f16 v13, v20, v21
	v_add_co_ci_u32_e32 v5, vcc_lo, v11, v5, vcc_lo
	v_pack_b32_f16 v12, v18, v19
	v_add_co_u32 v8, vcc_lo, v10, v8
	v_pack_b32_f16 v15, v30, v17
	v_add_co_ci_u32_e32 v9, vcc_lo, v11, v9, vcc_lo
	v_pack_b32_f16 v10, v28, v29
	global_store_dword v[0:1], v14, off
	global_store_dword v[2:3], v13, off
	;; [unrolled: 1-line block ×5, first 2 shown]
.LBB0_34:
	s_endpgm
	.section	.rodata,"a",@progbits
	.p2align	6, 0x0
	.amdhsa_kernel fft_rtc_fwd_len924_factors_2_2_3_7_11_wgs_44_tpt_44_halfLds_half_op_CI_CI_sbrr_dirReg
		.amdhsa_group_segment_fixed_size 0
		.amdhsa_private_segment_fixed_size 0
		.amdhsa_kernarg_size 104
		.amdhsa_user_sgpr_count 6
		.amdhsa_user_sgpr_private_segment_buffer 1
		.amdhsa_user_sgpr_dispatch_ptr 0
		.amdhsa_user_sgpr_queue_ptr 0
		.amdhsa_user_sgpr_kernarg_segment_ptr 1
		.amdhsa_user_sgpr_dispatch_id 0
		.amdhsa_user_sgpr_flat_scratch_init 0
		.amdhsa_user_sgpr_private_segment_size 0
		.amdhsa_wavefront_size32 1
		.amdhsa_uses_dynamic_stack 0
		.amdhsa_system_sgpr_private_segment_wavefront_offset 0
		.amdhsa_system_sgpr_workgroup_id_x 1
		.amdhsa_system_sgpr_workgroup_id_y 0
		.amdhsa_system_sgpr_workgroup_id_z 0
		.amdhsa_system_sgpr_workgroup_info 0
		.amdhsa_system_vgpr_workitem_id 0
		.amdhsa_next_free_vgpr 159
		.amdhsa_next_free_sgpr 31
		.amdhsa_reserve_vcc 1
		.amdhsa_reserve_flat_scratch 0
		.amdhsa_float_round_mode_32 0
		.amdhsa_float_round_mode_16_64 0
		.amdhsa_float_denorm_mode_32 3
		.amdhsa_float_denorm_mode_16_64 3
		.amdhsa_dx10_clamp 1
		.amdhsa_ieee_mode 1
		.amdhsa_fp16_overflow 0
		.amdhsa_workgroup_processor_mode 1
		.amdhsa_memory_ordered 1
		.amdhsa_forward_progress 0
		.amdhsa_shared_vgpr_count 0
		.amdhsa_exception_fp_ieee_invalid_op 0
		.amdhsa_exception_fp_denorm_src 0
		.amdhsa_exception_fp_ieee_div_zero 0
		.amdhsa_exception_fp_ieee_overflow 0
		.amdhsa_exception_fp_ieee_underflow 0
		.amdhsa_exception_fp_ieee_inexact 0
		.amdhsa_exception_int_div_zero 0
	.end_amdhsa_kernel
	.text
.Lfunc_end0:
	.size	fft_rtc_fwd_len924_factors_2_2_3_7_11_wgs_44_tpt_44_halfLds_half_op_CI_CI_sbrr_dirReg, .Lfunc_end0-fft_rtc_fwd_len924_factors_2_2_3_7_11_wgs_44_tpt_44_halfLds_half_op_CI_CI_sbrr_dirReg
                                        ; -- End function
	.section	.AMDGPU.csdata,"",@progbits
; Kernel info:
; codeLenInByte = 16792
; NumSgprs: 33
; NumVgprs: 159
; ScratchSize: 0
; MemoryBound: 0
; FloatMode: 240
; IeeeMode: 1
; LDSByteSize: 0 bytes/workgroup (compile time only)
; SGPRBlocks: 4
; VGPRBlocks: 19
; NumSGPRsForWavesPerEU: 33
; NumVGPRsForWavesPerEU: 159
; Occupancy: 6
; WaveLimiterHint : 1
; COMPUTE_PGM_RSRC2:SCRATCH_EN: 0
; COMPUTE_PGM_RSRC2:USER_SGPR: 6
; COMPUTE_PGM_RSRC2:TRAP_HANDLER: 0
; COMPUTE_PGM_RSRC2:TGID_X_EN: 1
; COMPUTE_PGM_RSRC2:TGID_Y_EN: 0
; COMPUTE_PGM_RSRC2:TGID_Z_EN: 0
; COMPUTE_PGM_RSRC2:TIDIG_COMP_CNT: 0
	.text
	.p2alignl 6, 3214868480
	.fill 48, 4, 3214868480
	.type	__hip_cuid_884c745eac568d8a,@object ; @__hip_cuid_884c745eac568d8a
	.section	.bss,"aw",@nobits
	.globl	__hip_cuid_884c745eac568d8a
__hip_cuid_884c745eac568d8a:
	.byte	0                               ; 0x0
	.size	__hip_cuid_884c745eac568d8a, 1

	.ident	"AMD clang version 19.0.0git (https://github.com/RadeonOpenCompute/llvm-project roc-6.4.0 25133 c7fe45cf4b819c5991fe208aaa96edf142730f1d)"
	.section	".note.GNU-stack","",@progbits
	.addrsig
	.addrsig_sym __hip_cuid_884c745eac568d8a
	.amdgpu_metadata
---
amdhsa.kernels:
  - .args:
      - .actual_access:  read_only
        .address_space:  global
        .offset:         0
        .size:           8
        .value_kind:     global_buffer
      - .offset:         8
        .size:           8
        .value_kind:     by_value
      - .actual_access:  read_only
        .address_space:  global
        .offset:         16
        .size:           8
        .value_kind:     global_buffer
      - .actual_access:  read_only
        .address_space:  global
        .offset:         24
        .size:           8
        .value_kind:     global_buffer
      - .actual_access:  read_only
        .address_space:  global
        .offset:         32
        .size:           8
        .value_kind:     global_buffer
      - .offset:         40
        .size:           8
        .value_kind:     by_value
      - .actual_access:  read_only
        .address_space:  global
        .offset:         48
        .size:           8
        .value_kind:     global_buffer
      - .actual_access:  read_only
        .address_space:  global
        .offset:         56
        .size:           8
        .value_kind:     global_buffer
      - .offset:         64
        .size:           4
        .value_kind:     by_value
      - .actual_access:  read_only
        .address_space:  global
        .offset:         72
        .size:           8
        .value_kind:     global_buffer
      - .actual_access:  read_only
        .address_space:  global
        .offset:         80
        .size:           8
        .value_kind:     global_buffer
      - .actual_access:  read_only
        .address_space:  global
        .offset:         88
        .size:           8
        .value_kind:     global_buffer
      - .actual_access:  write_only
        .address_space:  global
        .offset:         96
        .size:           8
        .value_kind:     global_buffer
    .group_segment_fixed_size: 0
    .kernarg_segment_align: 8
    .kernarg_segment_size: 104
    .language:       OpenCL C
    .language_version:
      - 2
      - 0
    .max_flat_workgroup_size: 44
    .name:           fft_rtc_fwd_len924_factors_2_2_3_7_11_wgs_44_tpt_44_halfLds_half_op_CI_CI_sbrr_dirReg
    .private_segment_fixed_size: 0
    .sgpr_count:     33
    .sgpr_spill_count: 0
    .symbol:         fft_rtc_fwd_len924_factors_2_2_3_7_11_wgs_44_tpt_44_halfLds_half_op_CI_CI_sbrr_dirReg.kd
    .uniform_work_group_size: 1
    .uses_dynamic_stack: false
    .vgpr_count:     159
    .vgpr_spill_count: 0
    .wavefront_size: 32
    .workgroup_processor_mode: 1
amdhsa.target:   amdgcn-amd-amdhsa--gfx1030
amdhsa.version:
  - 1
  - 2
...

	.end_amdgpu_metadata
